;; amdgpu-corpus repo=ROCm/rocFFT kind=compiled arch=gfx950 opt=O3
	.text
	.amdgcn_target "amdgcn-amd-amdhsa--gfx950"
	.amdhsa_code_object_version 6
	.protected	fft_rtc_fwd_len450_factors_10_5_3_3_wgs_120_tpt_30_halfLds_sp_op_CI_CI_unitstride_sbrr_dirReg ; -- Begin function fft_rtc_fwd_len450_factors_10_5_3_3_wgs_120_tpt_30_halfLds_sp_op_CI_CI_unitstride_sbrr_dirReg
	.globl	fft_rtc_fwd_len450_factors_10_5_3_3_wgs_120_tpt_30_halfLds_sp_op_CI_CI_unitstride_sbrr_dirReg
	.p2align	8
	.type	fft_rtc_fwd_len450_factors_10_5_3_3_wgs_120_tpt_30_halfLds_sp_op_CI_CI_unitstride_sbrr_dirReg,@function
fft_rtc_fwd_len450_factors_10_5_3_3_wgs_120_tpt_30_halfLds_sp_op_CI_CI_unitstride_sbrr_dirReg: ; @fft_rtc_fwd_len450_factors_10_5_3_3_wgs_120_tpt_30_halfLds_sp_op_CI_CI_unitstride_sbrr_dirReg
; %bb.0:
	s_load_dwordx4 s[4:7], s[0:1], 0x58
	s_load_dwordx4 s[8:11], s[0:1], 0x0
	;; [unrolled: 1-line block ×3, first 2 shown]
	v_mul_u32_u24_e32 v1, 0x889, v0
	v_lshrrev_b32_e32 v13, 16, v1
	v_lshl_add_u32 v8, s2, 2, v13
	v_mov_b32_e32 v2, 0
	s_waitcnt lgkmcnt(0)
	v_cmp_lt_u64_e64 s[2:3], s[10:11], 2
	v_mov_b32_e32 v9, v2
	s_and_b64 vcc, exec, s[2:3]
	v_mov_b64_e32 v[46:47], 0
	s_cbranch_vccnz .LBB0_8
; %bb.1:
	s_load_dwordx2 s[2:3], s[0:1], 0x10
	s_add_u32 s16, s14, 8
	s_addc_u32 s17, s15, 0
	s_add_u32 s18, s12, 8
	s_addc_u32 s19, s13, 0
	s_waitcnt lgkmcnt(0)
	s_add_u32 s20, s2, 8
	v_mov_b64_e32 v[46:47], 0
	s_addc_u32 s21, s3, 0
	s_mov_b64 s[22:23], 1
	v_mov_b64_e32 v[4:5], v[46:47]
.LBB0_2:                                ; =>This Inner Loop Header: Depth=1
	s_load_dwordx2 s[24:25], s[20:21], 0x0
                                        ; implicit-def: $vgpr6_vgpr7
	s_waitcnt lgkmcnt(0)
	v_or_b32_e32 v3, s25, v9
	v_cmp_ne_u64_e32 vcc, 0, v[2:3]
	s_and_saveexec_b64 s[2:3], vcc
	s_xor_b64 s[26:27], exec, s[2:3]
	s_cbranch_execz .LBB0_4
; %bb.3:                                ;   in Loop: Header=BB0_2 Depth=1
	v_cvt_f32_u32_e32 v1, s24
	v_cvt_f32_u32_e32 v3, s25
	s_sub_u32 s2, 0, s24
	s_subb_u32 s3, 0, s25
	v_fmac_f32_e32 v1, 0x4f800000, v3
	v_rcp_f32_e32 v1, v1
	s_nop 0
	v_mul_f32_e32 v1, 0x5f7ffffc, v1
	v_mul_f32_e32 v3, 0x2f800000, v1
	v_trunc_f32_e32 v3, v3
	v_fmac_f32_e32 v1, 0xcf800000, v3
	v_cvt_u32_f32_e32 v3, v3
	v_cvt_u32_f32_e32 v1, v1
	v_mul_lo_u32 v6, s2, v3
	v_mul_hi_u32 v10, s2, v1
	v_mul_lo_u32 v7, s3, v1
	v_add_u32_e32 v10, v10, v6
	v_mul_lo_u32 v12, s2, v1
	v_add_u32_e32 v14, v10, v7
	v_mul_hi_u32 v6, v1, v12
	v_mul_hi_u32 v11, v1, v14
	v_mul_lo_u32 v10, v1, v14
	v_mov_b32_e32 v7, v2
	v_lshl_add_u64 v[6:7], v[6:7], 0, v[10:11]
	v_mul_hi_u32 v11, v3, v12
	v_mul_lo_u32 v12, v3, v12
	v_add_co_u32_e32 v6, vcc, v6, v12
	v_mul_hi_u32 v10, v3, v14
	s_nop 0
	v_addc_co_u32_e32 v6, vcc, v7, v11, vcc
	v_mov_b32_e32 v7, v2
	s_nop 0
	v_addc_co_u32_e32 v11, vcc, 0, v10, vcc
	v_mul_lo_u32 v10, v3, v14
	v_lshl_add_u64 v[6:7], v[6:7], 0, v[10:11]
	v_add_co_u32_e32 v1, vcc, v1, v6
	v_mul_lo_u32 v10, s2, v1
	s_nop 0
	v_addc_co_u32_e32 v3, vcc, v3, v7, vcc
	v_mul_lo_u32 v6, s2, v3
	v_mul_hi_u32 v7, s2, v1
	v_add_u32_e32 v6, v7, v6
	v_mul_lo_u32 v7, s3, v1
	v_add_u32_e32 v12, v6, v7
	v_mul_hi_u32 v15, v3, v10
	v_mul_lo_u32 v16, v3, v10
	v_mul_hi_u32 v7, v1, v12
	v_mul_lo_u32 v6, v1, v12
	v_mul_hi_u32 v10, v1, v10
	v_mov_b32_e32 v11, v2
	v_lshl_add_u64 v[6:7], v[10:11], 0, v[6:7]
	v_add_co_u32_e32 v6, vcc, v6, v16
	v_mul_hi_u32 v14, v3, v12
	s_nop 0
	v_addc_co_u32_e32 v6, vcc, v7, v15, vcc
	v_mul_lo_u32 v10, v3, v12
	s_nop 0
	v_addc_co_u32_e32 v11, vcc, 0, v14, vcc
	v_mov_b32_e32 v7, v2
	v_lshl_add_u64 v[6:7], v[6:7], 0, v[10:11]
	v_add_co_u32_e32 v1, vcc, v1, v6
	v_mul_hi_u32 v10, v8, v1
	s_nop 0
	v_addc_co_u32_e32 v3, vcc, v3, v7, vcc
	v_mad_u64_u32 v[6:7], s[2:3], v8, v3, 0
	v_mov_b32_e32 v11, v2
	v_lshl_add_u64 v[6:7], v[10:11], 0, v[6:7]
	v_mad_u64_u32 v[14:15], s[2:3], v9, v1, 0
	v_add_co_u32_e32 v1, vcc, v6, v14
	v_mad_u64_u32 v[10:11], s[2:3], v9, v3, 0
	s_nop 0
	v_addc_co_u32_e32 v6, vcc, v7, v15, vcc
	v_mov_b32_e32 v7, v2
	s_nop 0
	v_addc_co_u32_e32 v11, vcc, 0, v11, vcc
	v_lshl_add_u64 v[6:7], v[6:7], 0, v[10:11]
	v_mul_lo_u32 v1, s25, v6
	v_mul_lo_u32 v3, s24, v7
	v_mad_u64_u32 v[10:11], s[2:3], s24, v6, 0
	v_add3_u32 v1, v11, v3, v1
	v_sub_u32_e32 v3, v9, v1
	v_mov_b32_e32 v11, s25
	v_sub_co_u32_e32 v12, vcc, v8, v10
	v_lshl_add_u64 v[14:15], v[6:7], 0, 1
	s_nop 0
	v_subb_co_u32_e64 v3, s[2:3], v3, v11, vcc
	v_subrev_co_u32_e64 v10, s[2:3], s24, v12
	v_subb_co_u32_e32 v1, vcc, v9, v1, vcc
	s_nop 0
	v_subbrev_co_u32_e64 v3, s[2:3], 0, v3, s[2:3]
	v_cmp_le_u32_e64 s[2:3], s25, v3
	v_cmp_le_u32_e32 vcc, s25, v1
	s_nop 0
	v_cndmask_b32_e64 v11, 0, -1, s[2:3]
	v_cmp_le_u32_e64 s[2:3], s24, v10
	s_nop 1
	v_cndmask_b32_e64 v10, 0, -1, s[2:3]
	v_cmp_eq_u32_e64 s[2:3], s25, v3
	s_nop 1
	v_cndmask_b32_e64 v3, v11, v10, s[2:3]
	v_lshl_add_u64 v[10:11], v[6:7], 0, 2
	v_cmp_ne_u32_e64 s[2:3], 0, v3
	s_nop 1
	v_cndmask_b32_e64 v3, v15, v11, s[2:3]
	v_cndmask_b32_e64 v11, 0, -1, vcc
	v_cmp_le_u32_e32 vcc, s24, v12
	s_nop 1
	v_cndmask_b32_e64 v12, 0, -1, vcc
	v_cmp_eq_u32_e32 vcc, s25, v1
	s_nop 1
	v_cndmask_b32_e32 v1, v11, v12, vcc
	v_cmp_ne_u32_e32 vcc, 0, v1
	v_cndmask_b32_e64 v1, v14, v10, s[2:3]
	s_nop 0
	v_cndmask_b32_e32 v7, v7, v3, vcc
	v_cndmask_b32_e32 v6, v6, v1, vcc
.LBB0_4:                                ;   in Loop: Header=BB0_2 Depth=1
	s_andn2_saveexec_b64 s[2:3], s[26:27]
	s_cbranch_execz .LBB0_6
; %bb.5:                                ;   in Loop: Header=BB0_2 Depth=1
	v_cvt_f32_u32_e32 v1, s24
	s_sub_i32 s26, 0, s24
	v_rcp_iflag_f32_e32 v1, v1
	s_nop 0
	v_mul_f32_e32 v1, 0x4f7ffffe, v1
	v_cvt_u32_f32_e32 v1, v1
	v_mul_lo_u32 v3, s26, v1
	v_mul_hi_u32 v3, v1, v3
	v_add_u32_e32 v1, v1, v3
	v_mul_hi_u32 v1, v8, v1
	v_mul_lo_u32 v3, v1, s24
	v_sub_u32_e32 v3, v8, v3
	v_add_u32_e32 v6, 1, v1
	v_subrev_u32_e32 v7, s24, v3
	v_cmp_le_u32_e32 vcc, s24, v3
	s_nop 1
	v_cndmask_b32_e32 v3, v3, v7, vcc
	v_cndmask_b32_e32 v1, v1, v6, vcc
	v_add_u32_e32 v6, 1, v1
	v_cmp_le_u32_e32 vcc, s24, v3
	v_mov_b32_e32 v7, v2
	s_nop 0
	v_cndmask_b32_e32 v6, v1, v6, vcc
.LBB0_6:                                ;   in Loop: Header=BB0_2 Depth=1
	s_or_b64 exec, exec, s[2:3]
	v_mad_u64_u32 v[10:11], s[2:3], v6, s24, 0
	s_load_dwordx2 s[2:3], s[18:19], 0x0
	v_mul_lo_u32 v1, v7, s24
	v_mul_lo_u32 v3, v6, s25
	s_load_dwordx2 s[24:25], s[16:17], 0x0
	s_add_u32 s22, s22, 1
	v_add3_u32 v1, v11, v3, v1
	v_sub_co_u32_e32 v3, vcc, v8, v10
	s_addc_u32 s23, s23, 0
	s_nop 0
	v_subb_co_u32_e32 v1, vcc, v9, v1, vcc
	s_add_u32 s16, s16, 8
	s_waitcnt lgkmcnt(0)
	v_mul_lo_u32 v8, s2, v1
	v_mul_lo_u32 v9, s3, v3
	v_mad_u64_u32 v[46:47], s[2:3], s2, v3, v[46:47]
	s_addc_u32 s17, s17, 0
	v_add3_u32 v47, v9, v47, v8
	v_mul_lo_u32 v1, s24, v1
	v_mul_lo_u32 v8, s25, v3
	v_mad_u64_u32 v[4:5], s[2:3], s24, v3, v[4:5]
	s_add_u32 s18, s18, 8
	v_add3_u32 v5, v8, v5, v1
	s_addc_u32 s19, s19, 0
	v_mov_b64_e32 v[8:9], s[10:11]
	s_add_u32 s20, s20, 8
	v_cmp_ge_u64_e32 vcc, s[22:23], v[8:9]
	s_addc_u32 s21, s21, 0
	s_cbranch_vccnz .LBB0_9
; %bb.7:                                ;   in Loop: Header=BB0_2 Depth=1
	v_mov_b64_e32 v[8:9], v[6:7]
	s_branch .LBB0_2
.LBB0_8:
	v_mov_b64_e32 v[4:5], v[46:47]
	v_mov_b64_e32 v[6:7], v[8:9]
.LBB0_9:
	s_load_dwordx2 s[0:1], s[0:1], 0x28
	s_lshl_b64 s[16:17], s[10:11], 3
	s_add_u32 s2, s14, s16
	s_addc_u32 s3, s15, s17
                                        ; implicit-def: $vgpr68
	s_waitcnt lgkmcnt(0)
	v_cmp_gt_u64_e32 vcc, s[0:1], v[6:7]
	v_cmp_le_u64_e64 s[0:1], s[0:1], v[6:7]
	s_and_saveexec_b64 s[10:11], s[0:1]
	s_xor_b64 s[0:1], exec, s[10:11]
; %bb.10:
	s_mov_b32 s10, 0x8888889
	v_mul_hi_u32 v1, v0, s10
	v_mul_u32_u24_e32 v1, 30, v1
	v_sub_u32_e32 v68, v0, v1
                                        ; implicit-def: $vgpr0
                                        ; implicit-def: $vgpr46_vgpr47
; %bb.11:
	s_or_saveexec_b64 s[10:11], s[0:1]
	s_load_dwordx2 s[2:3], s[2:3], 0x0
                                        ; implicit-def: $vgpr12
                                        ; implicit-def: $vgpr1
                                        ; implicit-def: $vgpr40
                                        ; implicit-def: $vgpr15
                                        ; implicit-def: $vgpr43
                                        ; implicit-def: $vgpr52
                                        ; implicit-def: $vgpr18
                                        ; implicit-def: $vgpr16
                                        ; implicit-def: $vgpr8
                                        ; implicit-def: $vgpr2
                                        ; implicit-def: $vgpr10
                                        ; implicit-def: $vgpr44
                                        ; implicit-def: $vgpr32
                                        ; implicit-def: $vgpr28
                                        ; implicit-def: $vgpr24
                                        ; implicit-def: $vgpr30
                                        ; implicit-def: $vgpr38
                                        ; implicit-def: $vgpr22
                                        ; implicit-def: $vgpr20
                                        ; implicit-def: $vgpr54
                                        ; implicit-def: $vgpr36
                                        ; implicit-def: $vgpr26
                                        ; implicit-def: $vgpr34
	s_xor_b64 exec, exec, s[10:11]
	s_cbranch_execz .LBB0_15
; %bb.12:
	s_add_u32 s0, s12, s16
	s_addc_u32 s1, s13, s17
	s_load_dwordx2 s[0:1], s[0:1], 0x0
	s_mov_b32 s12, 0x8888889
                                        ; implicit-def: $vgpr21
                                        ; implicit-def: $vgpr23
                                        ; implicit-def: $vgpr14
                                        ; implicit-def: $vgpr38
                                        ; implicit-def: $vgpr11
                                        ; implicit-def: $vgpr9
                                        ; implicit-def: $vgpr17
                                        ; implicit-def: $vgpr19
                                        ; implicit-def: $vgpr40
                                        ; implicit-def: $vgpr12
	s_waitcnt lgkmcnt(0)
	v_mul_lo_u32 v1, s1, v6
	v_mul_lo_u32 v8, s0, v7
	v_mad_u64_u32 v[2:3], s[0:1], s0, v6, 0
	v_add3_u32 v3, v3, v8, v1
	v_mul_hi_u32 v1, v0, s12
	v_mul_u32_u24_e32 v1, 30, v1
	v_sub_u32_e32 v68, v0, v1
	v_lshl_add_u64 v[0:1], v[2:3], 3, s[4:5]
	v_lshl_add_u64 v[0:1], v[46:47], 3, v[0:1]
	v_lshlrev_b32_e32 v2, 3, v68
	v_mov_b32_e32 v3, 0
	v_lshl_add_u64 v[42:43], v[0:1], 0, v[2:3]
	global_load_dwordx2 v[46:47], v[42:43], off
	global_load_dwordx2 v[52:53], v[42:43], off offset:360
	global_load_dwordx2 v[34:35], v[42:43], off offset:720
	;; [unrolled: 1-line block ×9, first 2 shown]
	v_cmp_gt_u32_e64 s[0:1], 15, v68
                                        ; implicit-def: $vgpr3
                                        ; implicit-def: $vgpr1
	s_and_saveexec_b64 s[4:5], s[0:1]
	s_cbranch_execz .LBB0_14
; %bb.13:
	global_load_dwordx2 v[44:45], v[42:43], off offset:3120
	global_load_dwordx2 v[14:15], v[42:43], off offset:240
	;; [unrolled: 1-line block ×10, first 2 shown]
	s_waitcnt vmcnt(9)
	v_mov_b32_e32 v21, v44
	v_mov_b32_e32 v12, v45
	s_waitcnt vmcnt(6)
	v_mov_b32_e32 v20, v18
	s_waitcnt vmcnt(5)
	;; [unrolled: 2-line block ×3, first 2 shown]
	v_mov_b32_e32 v22, v16
	v_mov_b32_e32 v16, v41
	s_waitcnt vmcnt(3)
	v_mov_b32_e32 v18, v39
.LBB0_14:
	s_or_b64 exec, exec, s[4:5]
	s_waitcnt vmcnt(5)
	v_mov_b32_e32 v43, v32
	v_mov_b32_e32 v44, v55
	;; [unrolled: 1-line block ×6, first 2 shown]
.LBB0_15:
	s_or_b64 exec, exec, s[10:11]
	s_waitcnt vmcnt(0)
	v_mov_b32_e32 v46, v24
	v_mov_b32_e32 v47, v54
	;; [unrolled: 1-line block ×4, first 2 shown]
	s_mov_b32 s4, 0x3e9e377a
	s_mov_b32 s11, 0x3f737871
	v_pk_add_f32 v[58:59], v[46:47], v[48:49] neg_lo:[0,1] neg_hi:[0,1]
	v_mov_b32_e32 v48, v54
	v_mov_b32_e32 v49, v44
	s_mov_b32 s5, 0x3f167918
	v_pk_add_f32 v[56:57], v[30:31], v[28:29] neg_lo:[0,1] neg_hi:[0,1]
	v_pk_add_f32 v[64:65], v[24:25], v[48:49]
	v_mov_b32_e32 v53, v32
	s_mov_b32 s0, s11
	v_pk_add_f32 v[46:47], v[28:29], v[24:25] neg_lo:[0,1] neg_hi:[0,1]
	v_pk_add_f32 v[62:63], v[48:49], v[24:25] neg_lo:[0,1] neg_hi:[0,1]
	v_pk_fma_f32 v[64:65], v[64:65], 0.5, v[52:53] op_sel_hi:[1,0,1] neg_lo:[1,0,0] neg_hi:[1,0,0]
	v_pk_mul_f32 v[66:67], v[56:57], s[0:1] op_sel_hi:[1,0]
	v_pk_add_f32 v[48:49], v[30:31], v[48:49] neg_lo:[0,1] neg_hi:[0,1]
	s_mov_b32 s12, s5
	v_pk_add_f32 v[48:49], v[46:47], v[48:49]
	v_pk_add_f32 v[46:47], v[66:67], v[64:65] op_sel:[1,0] op_sel_hi:[0,1]
	v_pk_add_f32 v[64:65], v[64:65], v[66:67] op_sel:[0,1] op_sel_hi:[1,0] neg_lo:[0,1] neg_hi:[0,1]
	v_pk_mul_f32 v[66:67], v[62:63], s[12:13] op_sel_hi:[1,0]
	v_pk_add_f32 v[60:61], v[44:45], v[30:31] op_sel_hi:[0,1] neg_lo:[0,1] neg_hi:[0,1]
	v_pk_add_f32 v[46:47], v[46:47], v[66:67] op_sel:[0,1] op_sel_hi:[1,0] neg_lo:[0,1] neg_hi:[0,1]
	v_pk_add_f32 v[64:65], v[66:67], v[64:65] op_sel:[1,0] op_sel_hi:[0,1]
	v_pk_add_f32 v[66:67], v[24:25], v[28:29] neg_lo:[0,1] neg_hi:[0,1]
	v_pk_fma_f32 v[46:47], v[48:49], s[4:5], v[46:47] op_sel_hi:[1,0,1]
	v_pk_fma_f32 v[48:49], v[48:49], s[4:5], v[64:65] op_sel_hi:[1,0,1]
	v_pk_add_f32 v[64:65], v[28:29], v[30:31]
	v_mov_b32_e32 v66, v58
	v_pk_fma_f32 v[64:65], v[64:65], 0.5, v[52:53] op_sel_hi:[1,0,1] neg_lo:[1,0,0] neg_hi:[1,0,0]
	v_mov_b32_e32 v60, v59
	v_pk_mul_f32 v[62:63], v[62:63], s[0:1] op_sel_hi:[1,0]
	v_pk_mul_f32 v[56:57], v[56:57], s[12:13] op_sel_hi:[1,0]
	v_pk_add_f32 v[58:59], v[66:67], v[60:61]
	v_pk_add_f32 v[66:67], v[62:63], v[64:65] op_sel:[1,0] op_sel_hi:[0,1]
	v_pk_add_f32 v[62:63], v[64:65], v[62:63] op_sel:[0,1] op_sel_hi:[1,0] neg_lo:[0,1] neg_hi:[0,1]
	v_pk_add_f32 v[50:51], v[44:45], v[34:35]
	v_pk_mul_f32 v[60:61], v[58:59], s[4:5] op_sel_hi:[1,0]
	v_pk_add_f32 v[62:63], v[62:63], v[56:57] op_sel:[0,1] op_sel_hi:[1,0] neg_lo:[0,1] neg_hi:[0,1]
	v_pk_add_f32 v[64:65], v[66:67], v[56:57] op_sel:[0,1] op_sel_hi:[1,0]
	v_mov_b32_e32 v50, v33
	v_mov_b32_e32 v64, v62
	v_mov_b32_e32 v62, v51
	v_mov_b32_e32 v51, v61
	v_pk_add_f32 v[50:51], v[50:51], v[62:63]
	v_mov_b32_e32 v56, v34
	v_mov_b32_e32 v63, v66
	;; [unrolled: 1-line block ×3, first 2 shown]
	v_add_f32_e32 v0, v26, v43
	v_pk_add_f32 v[56:57], v[56:57], v[62:63]
	v_mov_b32_e32 v62, v43
	v_mov_b32_e32 v63, v60
	v_mul_f32_e32 v53, 0.5, v0
	v_add_f32_e32 v39, v36, v34
	v_pk_add_f32 v[56:57], v[62:63], v[56:57]
	v_mov_b32_e32 v63, 0x3f4f1bbd
	v_mov_b32_e32 v62, v26
	v_mul_f32_e32 v61, 0.5, v39
	v_pk_add_f32 v[66:67], v[26:27], v[56:57]
	v_pk_mul_f32 v[62:63], v[62:63], v[56:57]
	v_pk_add_f32 v[70:71], v[54:55], v[52:53]
	v_pk_add_f32 v[52:53], v[54:55], v[52:53] neg_lo:[0,1] neg_hi:[0,1]
	v_mov_b32_e32 v54, v45
	v_mov_b32_e32 v60, v37
	;; [unrolled: 1-line block ×3, first 2 shown]
	v_mul_f32_e32 v63, 0x3f167918, v51
	v_mov_b32_e32 v62, v36
	v_pk_add_f32 v[54:55], v[54:55], v[60:61] neg_lo:[0,1] neg_hi:[0,1]
	v_mov_b32_e32 v60, v36
	v_mov_b32_e32 v61, v34
	v_mov_b32_e32 v42, v26
	v_pk_add_f32 v[66:67], v[62:63], v[66:67]
	v_pk_add_f32 v[62:63], v[60:61], v[42:43] neg_lo:[0,1] neg_hi:[0,1]
	v_mov_b32_e32 v73, v27
	v_mov_b32_e32 v72, v63
	v_pk_add_f32 v[74:75], v[62:63], v[72:73]
	v_pk_add_f32 v[62:63], v[32:33], v[72:73] neg_lo:[0,1] neg_hi:[0,1]
	v_pk_mul_f32 v[72:73], v[54:55], s[12:13]
	v_mov_b32_e32 v75, v63
	v_mov_b32_e32 v73, v72
	v_fmamk_f32 v72, v63, 0xbf737871, v55
	v_mul_f32_e32 v63, 0x3f737871, v63
	v_mov_b32_e32 v62, 0x3f167918
	v_pk_add_f32 v[60:61], v[42:43], v[60:61] neg_lo:[0,1] neg_hi:[0,1]
	v_pk_add_f32 v[76:77], v[54:55], v[62:63]
	v_add_f32_e32 v0, v60, v61
	v_mov_b32_e32 v71, v53
	v_mul_f32_e32 v61, 0x3f737871, v54
	v_mov_b32_e32 v60, v30
	v_pk_add_f32 v[76:77], v[76:77], v[72:73] neg_lo:[0,1] neg_hi:[0,1]
	v_pk_fma_f32 v[72:73], v[54:55], v[62:63], v[72:73]
	v_pk_add_f32 v[60:61], v[60:61], v[70:71]
	v_pk_mul_f32 v[70:71], v[74:75], s[4:5]
	v_mov_b32_e32 v73, v77
	v_mul_f32_e32 v0, 0x3e9e377a, v0
	v_mov_b32_e32 v74, v28
	v_mov_b32_e32 v75, v71
	v_pk_add_f32 v[72:73], v[0:1], v[72:73] op_sel_hi:[0,1]
	v_pk_add_f32 v[60:61], v[74:75], v[60:61]
	v_mov_b32_e32 v74, v24
	v_mov_b32_e32 v75, v70
	v_and_b32_e32 v0, 3, v13
	s_mov_b32 s10, s4
	v_fmac_f32_e32 v53, 0xbf737871, v54
	v_pk_add_f32 v[60:61], v[74:75], v[60:61]
	v_mul_u32_u24_e32 v28, 0x1c2, v0
	v_pk_mul_f32 v[74:75], v[46:47], s[10:11]
	v_pk_fma_f32 v[64:65], v[58:59], s[4:5], v[64:65] op_sel_hi:[1,0,1]
	v_sub_f32_e32 v0, v53, v71
	v_pk_fma_f32 v[76:77], v[48:49], s[10:11], v[74:75] op_sel:[0,0,1] op_sel_hi:[1,1,0]
	v_add_f32_e32 v70, v70, v0
	v_mul_f32_e32 v0, 0x3f4f1bbd, v64
	v_pk_add_f32 v[80:81], v[60:61], v[66:67]
	v_mov_b32_e32 v71, v66
	v_mov_b32_e32 v52, v67
	;; [unrolled: 1-line block ×6, first 2 shown]
	v_fma_f32 v66, v65, s5, -v0
	v_mad_u32_u24 v30, v68, 40, 0
	v_pk_add_f32 v[52:53], v[54:55], v[52:53] neg_lo:[0,1] neg_hi:[0,1]
	v_pk_add_f32 v[54:55], v[70:71], v[66:67]
	v_pk_add_f32 v[58:59], v[70:71], v[66:67] neg_lo:[0,1] neg_hi:[0,1]
	v_lshl_add_u32 v69, v28, 2, v30
	v_mov_b32_e32 v55, v59
	v_mov_b32_e32 v39, v18
	ds_write2_b64 v69, v[54:55], v[52:53] offset0:2 offset1:3
	v_pk_add_f32 v[52:53], v[38:39], v[10:11] neg_lo:[0,1] neg_hi:[0,1]
	v_pk_add_f32 v[54:55], v[2:3], v[8:9] neg_lo:[0,1] neg_hi:[0,1]
	v_pk_fma_f32 v[74:75], v[48:49], s[10:11], v[74:75] op_sel:[0,0,1] op_sel_hi:[1,1,0] neg_lo:[0,0,1] neg_hi:[0,0,1]
	v_pk_add_f32 v[52:53], v[54:55], v[52:53]
	v_mov_b32_e32 v41, v16
	v_pk_add_f32 v[54:55], v[8:9], v[10:11]
	v_pk_add_f32 v[58:59], v[38:39], v[2:3] neg_lo:[0,1] neg_hi:[0,1]
	v_mov_b32_e32 v77, v75
	v_pk_fma_f32 v[54:55], v[54:55], 0.5, v[40:41] op_sel_hi:[1,0,1] neg_lo:[1,0,0] neg_hi:[1,0,0]
	v_pk_mul_f32 v[60:61], v[58:59], s[0:1] op_sel_hi:[1,0]
	v_pk_add_f32 v[78:79], v[72:73], v[76:77]
	v_pk_add_f32 v[76:77], v[60:61], v[54:55] op_sel:[1,0] op_sel_hi:[0,1]
	v_pk_add_f32 v[54:55], v[54:55], v[60:61] op_sel:[0,1] op_sel_hi:[1,0] neg_lo:[0,1] neg_hi:[0,1]
	v_pk_add_f32 v[60:61], v[10:11], v[8:9] neg_lo:[0,1] neg_hi:[0,1]
	ds_write2_b64 v69, v[80:81], v[78:79] offset1:1
	v_pk_mul_f32 v[78:79], v[60:61], s[12:13] op_sel_hi:[1,0]
	v_pk_mul_f32 v[80:81], v[52:53], s[4:5] op_sel_hi:[1,0]
	v_pk_add_f32 v[76:77], v[78:79], v[76:77] op_sel:[1,0] op_sel_hi:[0,1]
	v_pk_add_f32 v[78:79], v[54:55], v[78:79] op_sel:[0,1] op_sel_hi:[1,0] neg_lo:[0,1] neg_hi:[0,1]
	v_add_f32_e32 v56, v80, v76
	v_mov_b32_e32 v76, v78
	v_pk_fma_f32 v[52:53], v[52:53], s[4:5], v[76:77] op_sel_hi:[1,0,1]
	v_pk_add_f32 v[54:55], v[8:9], v[2:3] neg_lo:[0,1] neg_hi:[0,1]
	v_pk_add_f32 v[76:77], v[10:11], v[38:39] neg_lo:[0,1] neg_hi:[0,1]
	v_pk_mul_f32 v[60:61], v[60:61], s[0:1] op_sel_hi:[1,0]
	v_pk_add_f32 v[76:77], v[54:55], v[76:77]
	v_pk_add_f32 v[54:55], v[2:3], v[38:39]
	v_pk_mul_f32 v[58:59], v[58:59], s[12:13] op_sel_hi:[1,0]
	v_pk_fma_f32 v[54:55], v[54:55], 0.5, v[40:41] op_sel_hi:[1,0,1] neg_lo:[1,0,0] neg_hi:[1,0,0]
	v_mov_b32_e32 v72, v73
	v_pk_add_f32 v[82:83], v[60:61], v[54:55] op_sel:[1,0] op_sel_hi:[0,1]
	v_pk_add_f32 v[54:55], v[54:55], v[60:61] op_sel:[0,1] op_sel_hi:[1,0] neg_lo:[0,1] neg_hi:[0,1]
	v_mov_b32_e32 v73, v70
	v_mov_b32_e32 v70, v75
	;; [unrolled: 1-line block ×3, first 2 shown]
	v_pk_add_f32 v[60:61], v[82:83], v[58:59] op_sel:[0,1] op_sel_hi:[1,0] neg_lo:[0,1] neg_hi:[0,1]
	v_pk_add_f32 v[58:59], v[58:59], v[54:55] op_sel:[1,0] op_sel_hi:[0,1]
	v_add_f32_e32 v78, v19, v15
	v_mov_b32_e32 v80, v17
	v_pk_add_f32 v[66:67], v[72:73], v[70:71] neg_lo:[0,1] neg_hi:[0,1]
	v_pk_fma_f32 v[54:55], v[76:77], s[4:5], v[60:61] op_sel_hi:[1,0,1]
	v_pk_fma_f32 v[58:59], v[76:77], s[4:5], v[58:59] op_sel_hi:[1,0,1]
	v_pk_add_f32 v[60:61], v[80:81], v[78:79]
	ds_write_b64 v69, v[66:67] offset:32
	s_mov_b32 s13, 0x3f4f1bbd
	v_mov_b32_e32 v66, v23
	v_mov_b32_e32 v67, v23
	s_mov_b32 s14, 0xbf737871
	v_cmp_gt_u32_e64 s[0:1], 15, v68
	v_mov_b32_e32 v24, v37
	s_and_saveexec_b64 s[16:17], s[0:1]
	s_cbranch_execz .LBB0_17
; %bb.16:
	v_add_f32_e32 v0, v66, v22
	v_mov_b32_e32 v39, v14
	v_pk_add_f32 v[70:71], v[20:21], v[22:23] neg_lo:[0,1] neg_hi:[0,1]
	v_mul_f32_e32 v41, 0.5, v0
	v_add_f32_e32 v13, v21, v20
	v_mov_b32_e32 v72, v71
	v_mov_b32_e32 v73, v17
	;; [unrolled: 1-line block ×3, first 2 shown]
	v_mul_f32_e32 v13, 0.5, v13
	v_pk_add_f32 v[80:81], v[38:39], v[40:41]
	v_pk_add_f32 v[40:41], v[38:39], v[40:41] neg_lo:[0,1] neg_hi:[0,1]
	v_mov_b32_e32 v38, v19
	v_pk_add_f32 v[70:71], v[72:73], v[70:71]
	v_pk_add_f32 v[72:73], v[72:73], v[0:1] neg_lo:[0,1] neg_hi:[0,1]
	s_mov_b32 s18, s13
	s_mov_b32 s19, s5
	v_pk_add_f32 v[38:39], v[38:39], v[12:13] neg_lo:[0,1] neg_hi:[0,1]
	s_mov_b32 s12, s5
	v_pk_mul_f32 v[74:75], v[52:53], s[18:19]
	v_mul_f32_e32 v63, 0x3f737871, v73
	v_pk_add_f32 v[78:79], v[20:21], v[14:15]
	v_pk_mul_f32 v[86:87], v[38:39], s[12:13]
	v_mov_b32_e32 v71, v73
	v_mov_b32_e32 v0, v75
	v_pk_add_f32 v[76:77], v[22:23], v[20:21] neg_lo:[0,1] neg_hi:[0,1]
	v_pk_add_f32 v[78:79], v[22:23], v[78:79]
	v_pk_add_f32 v[88:89], v[38:39], v[62:63]
	v_fmamk_f32 v72, v73, 0xbf737871, v39
	v_mov_b32_e32 v73, v86
	v_pk_fma_f32 v[74:75], v[52:53], s[18:19], v[0:1] neg_lo:[1,0,0] neg_hi:[1,0,0]
	v_add_f32_e32 v0, v77, v76
	v_mul_f32_e32 v42, 0x3f4f1bbd, v56
	v_pk_add_f32 v[78:79], v[66:67], v[78:79]
	v_pk_fma_f32 v[86:87], v[38:39], v[62:63], v[72:73]
	v_pk_add_f32 v[72:73], v[88:89], v[72:73] neg_lo:[0,1] neg_hi:[0,1]
	v_pk_mul_f32 v[70:71], v[70:71], s[4:5]
	v_mul_f32_e32 v0, 0x3e9e377a, v0
	v_mul_f32_e32 v77, 0x3f167918, v61
	v_mov_b32_e32 v81, v41
	v_mov_b32_e32 v76, v21
	;; [unrolled: 1-line block ×3, first 2 shown]
	v_mul_f32_e32 v85, 0x3f737871, v38
	v_mov_b32_e32 v87, v73
	v_mov_b32_e32 v84, v10
	v_pk_add_f32 v[76:77], v[76:77], v[78:79]
	v_mov_b32_e32 v78, v8
	v_mov_b32_e32 v79, v71
	v_pk_add_f32 v[72:73], v[0:1], v[86:87] op_sel_hi:[0,1]
	v_pk_mul_f32 v[86:87], v[54:55], s[10:11]
	v_fmac_f32_e32 v41, 0xbf737871, v38
	v_pk_add_f32 v[38:39], v[84:85], v[80:81]
	v_mov_b32_e32 v82, v2
	v_mov_b32_e32 v83, v70
	v_pk_fma_f32 v[88:89], v[58:59], s[10:11], v[86:87] op_sel:[0,0,1] op_sel_hi:[1,1,0]
	v_pk_fma_f32 v[86:87], v[58:59], s[10:11], v[86:87] op_sel:[0,0,1] op_sel_hi:[1,1,0] neg_lo:[0,0,1] neg_hi:[0,0,1]
	v_pk_add_f32 v[38:39], v[78:79], v[38:39]
	v_mov_b32_e32 v89, v87
	v_sub_f32_e32 v0, v41, v71
	v_pk_add_f32 v[38:39], v[82:83], v[38:39]
	v_pk_add_f32 v[90:91], v[72:73], v[88:89]
	v_add_f32_e32 v0, v70, v0
	v_pk_add_f32 v[40:41], v[38:39], v[76:77]
	ds_write2_b64 v69, v[40:41], v[90:91] offset0:150 offset1:151
	v_pk_add_f32 v[40:41], v[0:1], v[74:75]
	v_pk_add_f32 v[70:71], v[76:77], v[38:39] neg_lo:[0,1] neg_hi:[0,1]
	v_mov_b32_e32 v38, v39
	v_mov_b32_e32 v39, v72
	;; [unrolled: 1-line block ×4, first 2 shown]
	v_pk_add_f32 v[38:39], v[38:39], v[76:77] neg_lo:[0,1] neg_hi:[0,1]
	v_mov_b32_e32 v41, v70
	ds_write2_b64 v69, v[40:41], v[38:39] offset0:152 offset1:153
	v_mov_b32_e32 v38, v73
	v_mov_b32_e32 v39, v0
	;; [unrolled: 1-line block ×4, first 2 shown]
	v_pk_add_f32 v[38:39], v[38:39], v[40:41] neg_lo:[0,1] neg_hi:[0,1]
	ds_write_b64 v69, v[38:39] offset:1232
.LBB0_17:
	s_or_b64 exec, exec, s[16:17]
	v_add_f32_e32 v0, v27, v33
	v_mov_b32_e32 v2, v35
	v_fmac_f32_e32 v2, -0.5, v0
	v_add_f32_e32 v0, v37, v45
	v_sub_f32_e32 v38, v43, v26
	v_pk_add_f32 v[40:41], v[44:45], v[32:33]
	v_pk_add_f32 v[42:43], v[44:45], v[32:33] neg_lo:[0,1] neg_hi:[0,1]
	v_mul_f32_e32 v8, 0.5, v0
	v_mov_b32_e32 v32, v27
	v_mov_b32_e32 v44, v37
	;; [unrolled: 1-line block ×3, first 2 shown]
	v_pk_add_f32 v[42:43], v[36:37], v[26:27] neg_lo:[0,1] neg_hi:[0,1]
	v_pk_add_f32 v[32:33], v[32:33], v[44:45] neg_lo:[0,1] neg_hi:[0,1]
	v_mov_b32_e32 v37, v8
	v_add_f32_e32 v0, v32, v33
	v_pk_add_f32 v[32:33], v[34:35], v[36:37] neg_lo:[0,1] neg_hi:[0,1]
	s_mov_b32 s10, s5
	v_mov_b32_e32 v39, v32
	v_pk_mul_f32 v[34:35], v[38:39], s[10:11]
	v_mul_f32_e32 v63, 0x3f737871, v38
	v_sub_f32_e32 v8, v2, v35
	v_add_f32_e32 v2, v35, v2
	v_sub_f32_e32 v37, v8, v34
	v_add_f32_e32 v2, v34, v2
	v_pk_mul_f32 v[34:35], v[32:33], s[10:11]
	v_pk_add_f32 v[44:45], v[32:33], v[62:63]
	v_fmamk_f32 v38, v38, 0xbf737871, v33
	v_mov_b32_e32 v39, v34
	v_pk_fma_f32 v[32:33], v[32:33], v[62:63], v[38:39]
	v_pk_add_f32 v[34:35], v[44:45], v[38:39] neg_lo:[0,1] neg_hi:[0,1]
	v_mov_b32_e32 v42, v31
	v_mov_b32_e32 v33, v35
	v_pk_add_f32 v[34:35], v[42:43], v[40:41]
	v_mov_b32_e32 v39, 0x3e9e377a
	v_mov_b32_e32 v38, v29
	v_pk_add_f32 v[40:41], v[38:39], v[34:35]
	v_pk_mul_f32 v[34:35], v[38:39], v[34:35]
	v_mov_b32_e32 v36, v25
	v_mov_b32_e32 v41, v35
	;; [unrolled: 1-line block ×3, first 2 shown]
	v_add_f32_e32 v2, v35, v2
	v_pk_add_f32 v[34:35], v[36:37], v[40:41]
	v_pk_add_f32 v[36:37], v[8:9], v[50:51]
	v_pk_mul_f32 v[40:41], v[50:51], s[12:13]
	s_mov_b32 s12, 0xbf167918
	v_mul_f32_e32 v0, 0x3e9e377a, v0
	s_mov_b32 s10, s11
	s_mov_b32 s11, s4
	v_mov_b32_e32 v37, v41
	v_pk_mul_f32 v[40:41], v[64:65], s[12:13]
	v_pk_add_f32 v[26:27], v[0:1], v[32:33] op_sel_hi:[0,1]
	s_mov_b32 s15, s4
	v_pk_mul_f32 v[32:33], v[48:49], s[10:11]
	v_mov_b32_e32 v0, v41
	v_pk_fma_f32 v[32:33], v[46:47], s[14:15], v[32:33] op_sel:[0,0,1] op_sel_hi:[1,1,0] neg_lo:[0,0,1] neg_hi:[0,0,1]
	v_pk_fma_f32 v[40:41], v[64:65], s[12:13], v[0:1] neg_lo:[0,0,1] neg_hi:[0,0,1]
	v_pk_add_f32 v[46:47], v[26:27], v[32:33]
	v_mov_b32_e32 v43, v27
	v_mov_b32_e32 v27, v2
	;; [unrolled: 1-line block ×4, first 2 shown]
	v_mul_f32_e32 v25, 0x3f167918, v57
	v_pk_add_f32 v[48:49], v[26:27], v[44:45] neg_lo:[0,1] neg_hi:[0,1]
	v_pk_add_f32 v[26:27], v[36:37], v[24:25]
	v_pk_fma_f32 v[24:25], v[50:51], s[12:13], v[24:25] neg_lo:[0,0,1] neg_hi:[0,0,1]
	v_lshlrev_b32_e32 v44, 2, v28
	v_mul_i32_i24_e32 v0, 0xffffffdc, v68
	v_mov_b32_e32 v42, v35
	v_pk_add_f32 v[62:63], v[2:3], v[40:41]
	v_mov_b32_e32 v32, v25
	v_lshlrev_b32_e32 v45, 2, v68
	v_add3_u32 v41, v30, v0, v44
	v_mov_b32_e32 v24, v26
	v_pk_add_f32 v[70:71], v[42:43], v[32:33] neg_lo:[0,1] neg_hi:[0,1]
	v_add3_u32 v40, 0, v44, v45
	v_add_u32_e32 v43, 0x400, v41
	v_pk_add_f32 v[50:51], v[34:35], v[24:25]
	v_pk_add_f32 v[64:65], v[26:27], v[34:35] neg_lo:[0,1] neg_hi:[0,1]
	s_waitcnt lgkmcnt(0)
	s_barrier
	ds_read_b32 v2, v40
	ds_read2_b32 v[36:37], v41 offset0:90 offset1:120
	ds_read2_b32 v[28:29], v41 offset0:150 offset1:180
	;; [unrolled: 1-line block ×7, first 2 shown]
	v_add_u32_e32 v42, 30, v68
	v_mov_b32_e32 v72, v47
	v_mov_b32_e32 v73, v46
	;; [unrolled: 1-line block ×3, first 2 shown]
	s_waitcnt lgkmcnt(0)
	s_barrier
	ds_write2_b64 v69, v[50:51], v[72:73] offset1:1
	ds_write2_b64 v69, v[62:63], v[70:71] offset0:2 offset1:3
	ds_write_b64 v69, v[48:49] offset:32
	s_and_saveexec_b64 s[4:5], s[0:1]
	s_cbranch_execz .LBB0_19
; %bb.18:
	v_add_f32_e32 v0, v1, v17
	v_fma_f32 v8, -0.5, v0, v15
	v_add_f32_e32 v0, v12, v19
	v_mul_f32_e32 v51, 0.5, v0
	v_mov_b32_e32 v14, v20
	v_mov_b32_e32 v50, v21
	v_pk_add_f32 v[22:23], v[22:23], v[66:67] neg_lo:[0,1] neg_hi:[0,1]
	v_pk_add_f32 v[46:47], v[18:19], v[16:17]
	v_pk_add_f32 v[48:49], v[18:19], v[16:17] neg_lo:[0,1] neg_hi:[0,1]
	s_mov_b32 s0, 0x3f167918
	v_mov_b32_e32 v16, v1
	v_mov_b32_e32 v13, v19
	v_pk_add_f32 v[14:15], v[14:15], v[50:51] neg_lo:[0,1] neg_hi:[0,1]
	s_mov_b32 s1, 0x3f737871
	v_pk_add_f32 v[16:17], v[16:17], v[12:13] neg_lo:[0,1] neg_hi:[0,1]
	v_mov_b32_e32 v23, v14
	v_add_f32_e32 v0, v16, v17
	v_pk_mul_f32 v[16:17], v[22:23], s[0:1]
	v_mul_f32_e32 v63, 0x3f737871, v22
	v_sub_f32_e32 v10, v8, v17
	v_add_f32_e32 v8, v17, v8
	v_sub_f32_e32 v19, v10, v16
	v_add_f32_e32 v13, v16, v8
	v_mov_b32_e32 v62, 0x3f167918
	v_pk_mul_f32 v[16:17], v[14:15], s[0:1]
	v_mov_b32_e32 v47, v49
	v_sub_f32_e32 v49, v12, v1
	v_pk_add_f32 v[20:21], v[14:15], v[62:63]
	v_fmamk_f32 v22, v22, 0xbf737871, v15
	v_mov_b32_e32 v23, v16
	v_mov_b32_e32 v48, v11
	s_mov_b32 s10, 0xbf737871
	v_pk_fma_f32 v[14:15], v[14:15], v[62:63], v[22:23]
	v_pk_add_f32 v[16:17], v[20:21], v[22:23] neg_lo:[0,1] neg_hi:[0,1]
	v_pk_add_f32 v[10:11], v[48:49], v[46:47]
	v_mov_b32_e32 v38, v9
	s_mov_b32 s11, 0x3e9e377a
	v_mul_f32_e32 v0, 0x3e9e377a, v0
	v_mov_b32_e32 v15, v17
	v_pk_add_f32 v[8:9], v[38:39], v[10:11]
	v_pk_mul_f32 v[10:11], v[38:39], v[10:11]
	v_mov_b32_e32 v17, 0x3f4f1bbd
	v_mov_b32_e32 v16, v1
	;; [unrolled: 1-line block ×3, first 2 shown]
	v_add_f32_e32 v10, v11, v13
	v_mov_b32_e32 v18, v3
	v_pk_add_f32 v[0:1], v[0:1], v[14:15] op_sel_hi:[0,1]
	v_mul_f32_e32 v13, 0x3f167918, v56
	v_pk_add_f32 v[14:15], v[16:17], v[60:61]
	s_mov_b32 s0, s1
	s_mov_b32 s1, s11
	v_pk_add_f32 v[8:9], v[18:19], v[8:9]
	v_pk_add_f32 v[14:15], v[14:15], v[12:13]
	v_pk_fma_f32 v[12:13], v[60:61], s[12:13], v[12:13] neg_lo:[0,0,1] neg_hi:[0,0,1]
	v_pk_mul_f32 v[18:19], v[58:59], s[0:1]
	v_mul_f32_e32 v3, 0x3f4f1bbd, v53
	v_mov_b32_e32 v15, v13
	v_pk_fma_f32 v[18:19], v[54:55], s[10:11], v[18:19] op_sel:[0,0,1] op_sel_hi:[1,1,0] neg_lo:[0,0,1] neg_hi:[0,0,1]
	v_fma_f32 v22, v52, s12, -v3
	v_mov_b32_e32 v11, v14
	v_mov_b32_e32 v23, v8
	v_pk_add_f32 v[16:17], v[8:9], v[14:15]
	v_pk_add_f32 v[20:21], v[0:1], v[18:19]
	;; [unrolled: 1-line block ×3, first 2 shown]
	v_pk_add_f32 v[38:39], v[10:11], v[22:23] neg_lo:[0,1] neg_hi:[0,1]
	v_mov_b32_e32 v8, v9
	v_mov_b32_e32 v9, v1
	;; [unrolled: 1-line block ×4, first 2 shown]
	v_mul_u32_u24_e32 v3, 40, v42
	v_pk_add_f32 v[8:9], v[8:9], v[12:13] neg_lo:[0,1] neg_hi:[0,1]
	v_mov_b32_e32 v1, v10
	v_mov_b32_e32 v19, v22
	v_add3_u32 v3, 0, v3, v44
	v_mov_b32_e32 v10, v21
	v_mov_b32_e32 v11, v20
	;; [unrolled: 1-line block ×3, first 2 shown]
	v_pk_add_f32 v[0:1], v[0:1], v[18:19] neg_lo:[0,1] neg_hi:[0,1]
	ds_write2_b64 v3, v[16:17], v[10:11] offset1:1
	ds_write2_b64 v3, v[14:15], v[8:9] offset0:2 offset1:3
	ds_write_b64 v3, v[0:1] offset:32
.LBB0_19:
	s_or_b64 exec, exec, s[4:5]
	s_movk_i32 s0, 0xcd
	v_mul_lo_u16_sdwa v0, v68, s0 dst_sel:DWORD dst_unused:UNUSED_PAD src0_sel:BYTE_0 src1_sel:DWORD
	v_lshrrev_b16_e32 v3, 11, v0
	v_mul_lo_u16_e32 v0, 10, v3
	v_sub_u16_e32 v13, v68, v0
	v_mov_b32_e32 v0, 5
	v_lshlrev_b32_sdwa v1, v0, v13 dst_sel:DWORD dst_unused:UNUSED_PAD src0_sel:DWORD src1_sel:BYTE_0
	s_waitcnt lgkmcnt(0)
	s_barrier
	global_load_dwordx4 v[8:11], v1, s[8:9]
	global_load_dwordx4 v[14:17], v1, s[8:9] offset:16
	v_mul_lo_u16_sdwa v1, v42, s0 dst_sel:DWORD dst_unused:UNUSED_PAD src0_sel:BYTE_0 src1_sel:DWORD
	v_lshrrev_b16_e32 v22, 11, v1
	v_mul_lo_u16_e32 v1, 10, v22
	v_sub_u16_e32 v69, v42, v1
	v_lshlrev_b32_sdwa v1, v0, v69 dst_sel:DWORD dst_unused:UNUSED_PAD src0_sel:DWORD src1_sel:BYTE_0
	v_add_u32_e32 v23, 60, v68
	global_load_dwordx4 v[18:21], v1, s[8:9]
	global_load_dwordx4 v[46:49], v1, s[8:9] offset:16
	v_mul_lo_u16_sdwa v1, v23, s0 dst_sel:DWORD dst_unused:UNUSED_PAD src0_sel:BYTE_0 src1_sel:DWORD
	v_lshrrev_b16_e32 v70, 11, v1
	v_mul_lo_u16_e32 v1, 10, v70
	v_sub_u16_e32 v71, v23, v1
	v_lshlrev_b32_sdwa v0, v0, v71 dst_sel:DWORD dst_unused:UNUSED_PAD src0_sel:DWORD src1_sel:BYTE_0
	global_load_dwordx4 v[50:53], v0, s[8:9]
	global_load_dwordx4 v[54:57], v0, s[8:9] offset:16
	ds_read_b32 v72, v40
	ds_read2_b32 v[38:39], v41 offset0:90 offset1:120
	ds_read2_b32 v[58:59], v41 offset0:150 offset1:180
	;; [unrolled: 1-line block ×7, first 2 shown]
	v_mov_b32_e32 v12, 2
	s_movk_i32 s0, 0xc8
	v_lshlrev_b32_sdwa v13, v12, v13 dst_sel:DWORD dst_unused:UNUSED_PAD src0_sel:DWORD src1_sel:BYTE_0
	v_mad_u32_u24 v3, v3, s0, 0
	v_add3_u32 v13, v3, v13, v44
	v_lshlrev_b32_sdwa v69, v12, v69 dst_sel:DWORD dst_unused:UNUSED_PAD src0_sel:DWORD src1_sel:BYTE_0
	s_waitcnt lgkmcnt(0)
	s_barrier
	v_lshlrev_b32_sdwa v71, v12, v71 dst_sel:DWORD dst_unused:UNUSED_PAD src0_sel:DWORD src1_sel:BYTE_0
	s_movk_i32 s5, 0x258
	s_mov_b32 s4, 0x3f5db3d7
	s_waitcnt vmcnt(5)
	v_mul_f32_e32 v73, v38, v9
	v_mul_f32_e32 v9, v36, v9
	;; [unrolled: 1-line block ×3, first 2 shown]
	s_waitcnt vmcnt(4)
	v_mul_f32_e32 v75, v60, v15
	v_mul_f32_e32 v11, v29, v11
	;; [unrolled: 1-line block ×5, first 2 shown]
	s_waitcnt vmcnt(2)
	v_mul_f32_e32 v80, v66, v49
	v_fma_f32 v36, v36, v8, -v73
	v_fmac_f32_e32 v9, v38, v8
	v_fma_f32 v8, v29, v10, -v74
	v_fma_f32 v29, v34, v14, -v75
	s_waitcnt vmcnt(1)
	v_mul_f32_e32 v82, v65, v53
	v_mul_f32_e32 v49, v30, v49
	;; [unrolled: 1-line block ×3, first 2 shown]
	v_fmac_f32_e32 v15, v60, v14
	v_fma_f32 v14, v27, v16, -v76
	v_fmac_f32_e32 v17, v63, v16
	v_fma_f32 v27, v30, v48, -v80
	v_fma_f32 v30, v33, v52, -v82
	v_add_f32_e32 v33, v8, v29
	v_mul_f32_e32 v77, v39, v19
	v_mul_f32_e32 v19, v37, v19
	;; [unrolled: 1-line block ×5, first 2 shown]
	v_fmac_f32_e32 v11, v59, v10
	v_fma_f32 v33, -0.5, v33, v2
	v_sub_f32_e32 v34, v9, v17
	v_mul_f32_e32 v47, v35, v47
	v_fma_f32 v16, v37, v18, -v77
	v_fmac_f32_e32 v19, v39, v18
	v_fma_f32 v18, v32, v20, -v78
	v_fmac_f32_e32 v21, v64, v20
	v_fma_f32 v20, v35, v46, -v79
	v_fmamk_f32 v35, v34, 0x3f737871, v33
	v_sub_f32_e32 v37, v11, v15
	v_sub_f32_e32 v38, v36, v8
	;; [unrolled: 1-line block ×3, first 2 shown]
	v_fmac_f32_e32 v33, 0xbf737871, v34
	v_fmac_f32_e32 v35, 0x3f167918, v37
	v_add_f32_e32 v38, v38, v39
	v_fmac_f32_e32 v33, 0xbf167918, v37
	v_add_f32_e32 v32, v2, v36
	v_fmac_f32_e32 v35, 0x3e9e377a, v38
	v_fmac_f32_e32 v33, 0x3e9e377a, v38
	v_add_f32_e32 v38, v36, v14
	v_add_f32_e32 v32, v32, v8
	v_fmac_f32_e32 v2, -0.5, v38
	v_fmac_f32_e32 v47, v61, v46
	v_add_f32_e32 v32, v32, v29
	v_fmamk_f32 v38, v37, 0xbf737871, v2
	v_sub_f32_e32 v39, v8, v36
	v_sub_f32_e32 v46, v29, v14
	v_fmac_f32_e32 v2, 0x3f737871, v37
	v_add_f32_e32 v37, v11, v15
	v_add_f32_e32 v32, v32, v14
	v_fmac_f32_e32 v38, 0x3f167918, v34
	v_add_f32_e32 v39, v39, v46
	v_fmac_f32_e32 v2, 0xbf167918, v34
	v_fma_f32 v37, -0.5, v37, v72
	v_sub_f32_e32 v14, v36, v14
	v_fmac_f32_e32 v38, 0x3e9e377a, v39
	v_fmac_f32_e32 v2, 0x3e9e377a, v39
	v_fmamk_f32 v36, v14, 0xbf737871, v37
	v_sub_f32_e32 v8, v8, v29
	v_sub_f32_e32 v29, v9, v11
	;; [unrolled: 1-line block ×3, first 2 shown]
	v_fmac_f32_e32 v37, 0x3f737871, v14
	v_fmac_f32_e32 v36, 0xbf167918, v8
	v_add_f32_e32 v29, v29, v39
	v_fmac_f32_e32 v37, 0x3f167918, v8
	v_fmac_f32_e32 v36, 0x3e9e377a, v29
	;; [unrolled: 1-line block ×3, first 2 shown]
	v_add_f32_e32 v29, v9, v17
	v_add_f32_e32 v34, v72, v9
	v_fmac_f32_e32 v72, -0.5, v29
	v_add_f32_e32 v34, v34, v11
	v_fmamk_f32 v29, v8, 0x3f737871, v72
	v_sub_f32_e32 v9, v11, v9
	v_sub_f32_e32 v11, v15, v17
	v_fmac_f32_e32 v72, 0xbf737871, v8
	v_fmac_f32_e32 v29, 0xbf167918, v14
	v_add_f32_e32 v9, v9, v11
	v_fmac_f32_e32 v72, 0x3f167918, v14
	v_fmac_f32_e32 v49, v66, v48
	;; [unrolled: 1-line block ×4, first 2 shown]
	v_add_f32_e32 v9, v18, v20
	v_add_f32_e32 v34, v34, v15
	v_fma_f32 v9, -0.5, v9, v24
	v_sub_f32_e32 v11, v19, v49
	v_add_f32_e32 v34, v34, v17
	v_fmamk_f32 v14, v11, 0x3f737871, v9
	v_sub_f32_e32 v15, v21, v47
	v_sub_f32_e32 v17, v16, v18
	;; [unrolled: 1-line block ×3, first 2 shown]
	v_fmac_f32_e32 v9, 0xbf737871, v11
	v_fmac_f32_e32 v14, 0x3f167918, v15
	v_add_f32_e32 v17, v17, v39
	v_fmac_f32_e32 v9, 0xbf167918, v15
	v_fmac_f32_e32 v14, 0x3e9e377a, v17
	;; [unrolled: 1-line block ×3, first 2 shown]
	v_add_f32_e32 v17, v16, v27
	v_fma_f32 v17, -0.5, v17, v24
	v_add_f32_e32 v8, v24, v16
	v_fmamk_f32 v24, v15, 0xbf737871, v17
	v_fmac_f32_e32 v17, 0x3f737871, v15
	v_fmac_f32_e32 v24, 0x3f167918, v11
	;; [unrolled: 1-line block ×3, first 2 shown]
	v_add_f32_e32 v11, v0, v19
	v_add_f32_e32 v11, v11, v21
	v_sub_f32_e32 v39, v18, v16
	v_sub_f32_e32 v46, v20, v27
	v_add_f32_e32 v11, v11, v47
	v_add_f32_e32 v8, v8, v18
	;; [unrolled: 1-line block ×6, first 2 shown]
	v_fmac_f32_e32 v24, 0x3e9e377a, v39
	v_fmac_f32_e32 v17, 0x3e9e377a, v39
	v_fma_f32 v39, -0.5, v11, v0
	v_sub_f32_e32 v11, v16, v27
	v_add_f32_e32 v8, v8, v27
	v_fmamk_f32 v16, v11, 0xbf737871, v39
	v_sub_f32_e32 v18, v18, v20
	v_sub_f32_e32 v20, v19, v21
	;; [unrolled: 1-line block ×3, first 2 shown]
	v_fmac_f32_e32 v39, 0x3f737871, v11
	v_fmac_f32_e32 v16, 0xbf167918, v18
	v_add_f32_e32 v20, v20, v27
	v_fmac_f32_e32 v39, 0x3f167918, v18
	v_fmac_f32_e32 v16, 0x3e9e377a, v20
	;; [unrolled: 1-line block ×3, first 2 shown]
	v_add_f32_e32 v20, v19, v49
	s_waitcnt vmcnt(0)
	v_mul_f32_e32 v83, v62, v55
	v_fma_f32 v0, -0.5, v20, v0
	v_mul_f32_e32 v81, v58, v51
	v_mul_f32_e32 v51, v28, v51
	;; [unrolled: 1-line block ×4, first 2 shown]
	v_fma_f32 v26, v26, v54, -v83
	v_fmamk_f32 v20, v18, 0x3f737871, v0
	v_sub_f32_e32 v19, v21, v19
	v_sub_f32_e32 v21, v47, v49
	v_fmac_f32_e32 v0, 0xbf737871, v18
	v_mul_f32_e32 v84, v67, v57
	v_fmac_f32_e32 v51, v58, v50
	v_fmac_f32_e32 v10, v67, v56
	;; [unrolled: 1-line block ×3, first 2 shown]
	v_add_f32_e32 v19, v19, v21
	v_fmac_f32_e32 v0, 0x3f167918, v11
	v_add_f32_e32 v18, v30, v26
	v_fma_f32 v28, v28, v50, -v81
	v_fmac_f32_e32 v53, v65, v52
	v_fmac_f32_e32 v55, v62, v54
	v_fma_f32 v31, v31, v56, -v84
	v_fmac_f32_e32 v20, 0x3e9e377a, v19
	v_fmac_f32_e32 v0, 0x3e9e377a, v19
	v_fma_f32 v18, -0.5, v18, v25
	v_sub_f32_e32 v19, v51, v10
	v_fmamk_f32 v21, v19, 0x3f737871, v18
	v_sub_f32_e32 v27, v53, v55
	v_sub_f32_e32 v46, v28, v30
	;; [unrolled: 1-line block ×3, first 2 shown]
	v_fmac_f32_e32 v18, 0xbf737871, v19
	v_fmac_f32_e32 v21, 0x3f167918, v27
	v_add_f32_e32 v46, v46, v47
	v_fmac_f32_e32 v18, 0xbf167918, v27
	v_fmac_f32_e32 v21, 0x3e9e377a, v46
	;; [unrolled: 1-line block ×3, first 2 shown]
	v_add_f32_e32 v46, v28, v31
	v_add_f32_e32 v11, v25, v28
	v_fmac_f32_e32 v25, -0.5, v46
	v_add_f32_e32 v11, v11, v30
	v_fmamk_f32 v46, v27, 0xbf737871, v25
	v_sub_f32_e32 v47, v30, v28
	v_sub_f32_e32 v48, v26, v31
	v_fmac_f32_e32 v25, 0x3f737871, v27
	v_add_f32_e32 v27, v53, v55
	v_add_f32_e32 v11, v11, v26
	v_fmac_f32_e32 v46, 0x3f167918, v19
	v_add_f32_e32 v47, v47, v48
	v_fmac_f32_e32 v25, 0xbf167918, v19
	v_fma_f32 v27, -0.5, v27, v1
	v_sub_f32_e32 v28, v28, v31
	v_add_f32_e32 v11, v11, v31
	v_fmac_f32_e32 v46, 0x3e9e377a, v47
	v_fmac_f32_e32 v25, 0x3e9e377a, v47
	v_fmamk_f32 v31, v28, 0xbf737871, v27
	v_sub_f32_e32 v26, v30, v26
	v_sub_f32_e32 v30, v51, v53
	;; [unrolled: 1-line block ×3, first 2 shown]
	v_fmac_f32_e32 v27, 0x3f737871, v28
	v_add_f32_e32 v19, v1, v51
	v_fmac_f32_e32 v31, 0xbf167918, v26
	v_add_f32_e32 v30, v30, v47
	;; [unrolled: 2-line block ×3, first 2 shown]
	v_fmac_f32_e32 v31, 0x3e9e377a, v30
	v_fmac_f32_e32 v27, 0x3e9e377a, v30
	v_add_f32_e32 v30, v51, v10
	v_add_f32_e32 v19, v19, v55
	v_fmac_f32_e32 v1, -0.5, v30
	ds_write2_b32 v13, v32, v35 offset1:10
	ds_write2_b32 v13, v38, v2 offset0:20 offset1:30
	ds_write_b32 v13, v33 offset:160
	v_mad_u32_u24 v2, v22, s0, 0
	v_add_f32_e32 v19, v19, v10
	v_fmamk_f32 v30, v26, 0x3f737871, v1
	v_sub_f32_e32 v47, v53, v51
	v_sub_f32_e32 v10, v55, v10
	v_fmac_f32_e32 v1, 0xbf737871, v26
	v_add3_u32 v22, v2, v69, v44
	v_mad_u32_u24 v2, v70, s0, 0
	v_fmac_f32_e32 v30, 0xbf167918, v28
	v_add_f32_e32 v10, v47, v10
	v_fmac_f32_e32 v1, 0x3f167918, v28
	ds_write2_b32 v22, v8, v14 offset1:10
	ds_write2_b32 v22, v24, v17 offset0:20 offset1:30
	ds_write_b32 v22, v9 offset:160
	v_add3_u32 v8, v2, v71, v44
	v_fmac_f32_e32 v30, 0x3e9e377a, v10
	v_fmac_f32_e32 v1, 0x3e9e377a, v10
	ds_write2_b32 v8, v11, v21 offset1:10
	ds_write2_b32 v8, v46, v25 offset0:20 offset1:30
	ds_write_b32 v8, v18 offset:160
	s_waitcnt lgkmcnt(0)
	s_barrier
	ds_read_b32 v69, v40
	ds_read2_b32 v[24:25], v41 offset0:150 offset1:180
	ds_read2_b32 v[46:47], v43 offset0:14 offset1:44
	;; [unrolled: 1-line block ×7, first 2 shown]
	s_waitcnt lgkmcnt(0)
	s_barrier
	ds_write2_b32 v13, v34, v36 offset1:10
	ds_write2_b32 v13, v29, v72 offset0:20 offset1:30
	ds_write_b32 v13, v37 offset:160
	ds_write2_b32 v22, v15, v16 offset1:10
	ds_write2_b32 v22, v20, v0 offset0:20 offset1:30
	ds_write_b32 v22, v39 offset:160
	;; [unrolled: 3-line block ×3, first 2 shown]
	v_lshlrev_b32_e32 v8, 1, v68
	v_mov_b32_e32 v9, 0
	v_lshl_add_u64 v[0:1], v[8:9], 3, s[8:9]
	v_add_u32_e32 v26, 0x5a, v68
	v_add_u32_e32 v8, 20, v8
	v_mov_b32_e32 v22, 41
	v_lshl_add_u64 v[28:29], v[8:9], 3, s[8:9]
	v_mul_lo_u16_sdwa v8, v26, v22 dst_sel:DWORD dst_unused:UNUSED_PAD src0_sel:BYTE_0 src1_sel:DWORD
	v_subrev_u32_e32 v13, 20, v68
	v_cmp_gt_u32_e64 s[0:1], 20, v68
	v_lshrrev_b16_e32 v27, 11, v8
	v_mul_lo_u16_e32 v8, 50, v27
	v_cndmask_b32_e64 v13, v13, v42, s[0:1]
	s_waitcnt lgkmcnt(0)
	s_barrier
	global_load_dwordx4 v[14:17], v[0:1], off offset:320
	v_lshlrev_b32_e32 v18, 1, v13
	v_mov_b32_e32 v19, v9
	v_sub_u16_e32 v70, v26, v8
	v_mov_b32_e32 v36, 4
	v_lshl_add_u64 v[18:19], v[18:19], 3, s[8:9]
	v_lshlrev_b32_sdwa v8, v36, v70 dst_sel:DWORD dst_unused:UNUSED_PAD src0_sel:DWORD src1_sel:BYTE_0
	global_load_dwordx4 v[32:35], v8, s[8:9] offset:320
	v_add_u32_e32 v8, 0x78, v68
	global_load_dwordx4 v[18:21], v[18:19], off offset:320
	v_mul_lo_u16_sdwa v22, v8, v22 dst_sel:DWORD dst_unused:UNUSED_PAD src0_sel:BYTE_0 src1_sel:DWORD
	global_load_dwordx4 v[28:31], v[28:29], off offset:320
	v_lshrrev_b16_e32 v22, 11, v22
	v_mul_lo_u16_e32 v22, 50, v22
	v_sub_u16_e32 v22, v8, v22
	v_lshlrev_b32_sdwa v36, v36, v22 dst_sel:DWORD dst_unused:UNUSED_PAD src0_sel:DWORD src1_sel:BYTE_0
	global_load_dwordx4 v[36:39], v36, s[8:9] offset:320
	ds_read_b32 v71, v40
	ds_read2_b32 v[54:55], v41 offset0:150 offset1:180
	ds_read2_b32 v[56:57], v43 offset0:14 offset1:44
	;; [unrolled: 1-line block ×7, first 2 shown]
	v_cmp_lt_u32_e64 s[0:1], 19, v68
	v_lshlrev_b32_e32 v13, 2, v13
	s_waitcnt lgkmcnt(0)
	s_barrier
	s_waitcnt vmcnt(4)
	v_mul_f32_e32 v72, v54, v15
	v_mul_f32_e32 v15, v24, v15
	v_fma_f32 v72, v24, v14, -v72
	v_fmac_f32_e32 v15, v54, v14
	v_mul_f32_e32 v14, v57, v17
	v_mul_f32_e32 v17, v47, v17
	v_fma_f32 v14, v47, v16, -v14
	v_fmac_f32_e32 v17, v57, v16
	s_waitcnt vmcnt(2)
	v_mul_f32_e32 v16, v55, v19
	v_mul_f32_e32 v19, v25, v19
	v_fma_f32 v16, v25, v18, -v16
	v_fmac_f32_e32 v19, v55, v18
	v_mul_f32_e32 v18, v60, v21
	v_mul_f32_e32 v21, v48, v21
	v_fma_f32 v18, v48, v20, -v18
	v_fmac_f32_e32 v21, v60, v20
	;; [unrolled: 9-line block ×3, first 2 shown]
	v_mul_f32_e32 v29, v63, v33
	v_mul_f32_e32 v30, v51, v33
	v_fma_f32 v29, v51, v32, -v29
	v_fmac_f32_e32 v30, v63, v32
	v_mul_f32_e32 v31, v66, v35
	v_mul_f32_e32 v32, v52, v35
	v_fma_f32 v31, v52, v34, -v31
	v_fmac_f32_e32 v32, v66, v34
	s_waitcnt vmcnt(0)
	v_mul_f32_e32 v33, v56, v37
	v_mul_f32_e32 v34, v46, v37
	v_fma_f32 v33, v46, v36, -v33
	v_fmac_f32_e32 v34, v56, v36
	v_mul_f32_e32 v35, v67, v39
	v_mul_f32_e32 v36, v53, v39
	v_fma_f32 v35, v53, v38, -v35
	v_fmac_f32_e32 v36, v67, v38
	v_add_f32_e32 v38, v72, v14
	v_add_f32_e32 v37, v69, v72
	v_fmac_f32_e32 v69, -0.5, v38
	v_sub_f32_e32 v38, v15, v17
	v_fmamk_f32 v39, v38, 0x3f5db3d7, v69
	v_fmac_f32_e32 v69, 0xbf5db3d7, v38
	v_add_f32_e32 v38, v71, v15
	v_add_f32_e32 v15, v15, v17
	;; [unrolled: 1-line block ×3, first 2 shown]
	v_fmac_f32_e32 v71, -0.5, v15
	v_sub_f32_e32 v14, v72, v14
	v_add_f32_e32 v15, v16, v18
	v_fmamk_f32 v46, v14, 0xbf5db3d7, v71
	v_fmac_f32_e32 v71, 0x3f5db3d7, v14
	v_add_f32_e32 v14, v10, v16
	v_fma_f32 v10, -0.5, v15, v10
	v_sub_f32_e32 v15, v19, v21
	v_add_f32_e32 v38, v38, v17
	v_fmamk_f32 v17, v15, 0x3f5db3d7, v10
	v_fmac_f32_e32 v10, 0xbf5db3d7, v15
	v_add_f32_e32 v15, v58, v19
	v_add_f32_e32 v47, v15, v21
	;; [unrolled: 1-line block ×3, first 2 shown]
	v_fma_f32 v48, -0.5, v15, v58
	v_sub_f32_e32 v15, v16, v18
	v_add_f32_e32 v16, v20, v25
	v_fmamk_f32 v49, v15, 0xbf5db3d7, v48
	v_fmac_f32_e32 v48, 0x3f5db3d7, v15
	v_add_f32_e32 v15, v11, v20
	v_fmac_f32_e32 v11, -0.5, v16
	v_sub_f32_e32 v16, v24, v28
	v_add_f32_e32 v14, v14, v18
	v_fmamk_f32 v18, v16, 0x3f5db3d7, v11
	v_fmac_f32_e32 v11, 0xbf5db3d7, v16
	v_add_f32_e32 v16, v59, v24
	v_add_f32_e32 v50, v16, v28
	;; [unrolled: 1-line block ×3, first 2 shown]
	v_fmac_f32_e32 v59, -0.5, v16
	v_sub_f32_e32 v16, v20, v25
	v_add_f32_e32 v19, v29, v31
	v_fmamk_f32 v28, v16, 0xbf5db3d7, v59
	v_fmac_f32_e32 v59, 0x3f5db3d7, v16
	v_add_f32_e32 v16, v2, v29
	v_fma_f32 v2, -0.5, v19, v2
	v_sub_f32_e32 v19, v30, v32
	v_fmamk_f32 v20, v19, 0x3f5db3d7, v2
	v_fmac_f32_e32 v2, 0xbf5db3d7, v19
	v_add_f32_e32 v19, v64, v30
	v_add_f32_e32 v51, v19, v32
	v_add_f32_e32 v19, v30, v32
	v_fma_f32 v30, -0.5, v19, v64
	v_sub_f32_e32 v19, v29, v31
	v_add_f32_e32 v21, v33, v35
	v_fmamk_f32 v29, v19, 0xbf5db3d7, v30
	v_fmac_f32_e32 v30, 0x3f5db3d7, v19
	v_add_f32_e32 v19, v3, v33
	v_fmac_f32_e32 v3, -0.5, v21
	v_sub_f32_e32 v21, v34, v36
	v_fmamk_f32 v24, v21, 0x3f5db3d7, v3
	v_fmac_f32_e32 v3, 0xbf5db3d7, v21
	v_add_f32_e32 v21, v65, v34
	v_add_f32_e32 v16, v16, v31
	;; [unrolled: 1-line block ×4, first 2 shown]
	v_fmac_f32_e32 v65, -0.5, v21
	v_sub_f32_e32 v21, v33, v35
	v_fmamk_f32 v32, v21, 0xbf5db3d7, v65
	v_fmac_f32_e32 v65, 0x3f5db3d7, v21
	v_mov_b32_e32 v21, 0x258
	v_cndmask_b32_e64 v21, 0, v21, s[0:1]
	v_add_u32_e32 v21, 0, v21
	v_add_f32_e32 v15, v15, v25
	v_add3_u32 v33, v21, v13, v44
	v_add3_u32 v34, 0, v45, v44
	ds_write2_b32 v41, v37, v39 offset1:50
	ds_write_b32 v41, v69 offset:400
	ds_write2_b32 v33, v14, v17 offset1:50
	ds_write_b32 v33, v10 offset:400
	ds_write2_b32 v34, v15, v18 offset0:160 offset1:210
	ds_write_b32 v34, v11 offset:1040
	v_mad_u32_u24 v10, v27, s5, 0
	v_lshlrev_b32_sdwa v11, v12, v70 dst_sel:DWORD dst_unused:UNUSED_PAD src0_sel:DWORD src1_sel:BYTE_0
	v_add3_u32 v27, v10, v11, v44
	ds_write2_b32 v27, v16, v20 offset1:50
	ds_write_b32 v27, v2 offset:400
	v_lshlrev_b32_sdwa v2, v12, v22 dst_sel:DWORD dst_unused:UNUSED_PAD src0_sel:DWORD src1_sel:BYTE_0
	v_add3_u32 v2, 0, v2, v44
	v_add_f32_e32 v19, v19, v35
	v_add_u32_e32 v35, 0x400, v2
	ds_write2_b32 v35, v19, v24 offset0:44 offset1:94
	ds_write_b32 v2, v3 offset:1600
	s_waitcnt lgkmcnt(0)
	s_barrier
	ds_read_b32 v22, v40
	ds_read2_b32 v[24:25], v41 offset0:150 offset1:180
	ds_read2_b32 v[10:11], v43 offset0:14 offset1:44
	;; [unrolled: 1-line block ×7, first 2 shown]
	s_waitcnt lgkmcnt(0)
	s_barrier
	ds_write2_b32 v41, v38, v46 offset1:50
	ds_write_b32 v41, v71 offset:400
	ds_write2_b32 v33, v47, v49 offset1:50
	ds_write_b32 v33, v48 offset:400
	ds_write2_b32 v34, v50, v28 offset0:160 offset1:210
	ds_write_b32 v34, v59 offset:1040
	ds_write2_b32 v27, v51, v29 offset1:50
	ds_write_b32 v27, v30 offset:400
	ds_write2_b32 v35, v31, v32 offset0:44 offset1:94
	ds_write_b32 v2, v65 offset:1600
	s_waitcnt lgkmcnt(0)
	s_barrier
	s_and_saveexec_b64 s[0:1], vcc
	s_cbranch_execz .LBB0_21
; %bb.20:
	global_load_dwordx4 v[0:3], v[0:1], off offset:1120
	v_lshlrev_b32_e32 v8, 1, v8
	v_lshl_add_u64 v[44:45], v[8:9], 3, s[8:9]
	v_lshlrev_b32_e32 v8, 1, v26
	v_lshl_add_u64 v[34:35], v[8:9], 3, s[8:9]
	;; [unrolled: 2-line block ×4, first 2 shown]
	global_load_dwordx4 v[36:39], v[26:27], off offset:1120
	v_mul_lo_u32 v8, s3, v6
	v_mul_lo_u32 v26, s2, v7
	v_mad_u64_u32 v[48:49], s[0:1], s2, v6, 0
	v_add_u32_e32 v42, 0x400, v41
	ds_read2_b32 v[6:7], v41 offset0:90 offset1:120
	ds_read2_b32 v[30:31], v41 offset0:210 offset1:240
	;; [unrolled: 1-line block ×4, first 2 shown]
	ds_read_b32 v23, v40
	v_add3_u32 v49, v49, v26, v8
	ds_read2_b32 v[28:29], v42 offset0:14 offset1:44
	ds_read2_b32 v[26:27], v42 offset0:134 offset1:164
	;; [unrolled: 1-line block ×3, first 2 shown]
	global_load_dwordx4 v[40:43], v[46:47], off offset:1120
	v_lshl_add_u64 v[48:49], v[48:49], 3, s[6:7]
	global_load_dwordx4 v[44:47], v[44:45], off offset:1120
	v_lshl_add_u64 v[4:5], v[4:5], 3, v[48:49]
	global_load_dwordx4 v[48:51], v[34:35], off offset:1120
	s_mov_b32 s1, 0x1b4e81b5
	v_mov_b32_e32 v54, v11
	v_mov_b32_e32 v56, v11
	v_add_u32_e32 v11, 30, v68
	v_mov_b32_e32 v62, v18
	v_mul_hi_u32 v18, v11, s1
	s_movk_i32 s0, 0x96
	v_lshrrev_b32_e32 v55, 4, v18
	v_mul_lo_u32 v18, v55, s0
	s_movk_i32 s2, 0x1c2
	v_mul_hi_u32 v8, v68, s1
	v_sub_u32_e32 v18, v11, v18
	s_waitcnt lgkmcnt(2)
	v_mov_b32_e32 v70, v29
	v_lshrrev_b32_e32 v8, 4, v8
	v_mad_u64_u32 v[34:35], s[6:7], v55, s2, v[18:19]
	v_mov_b32_e32 v18, v53
	v_mov_b32_e32 v58, v25
	;; [unrolled: 1-line block ×3, first 2 shown]
	v_mul_lo_u32 v8, v8, s0
	v_sub_u32_e32 v8, v68, v8
	v_lshlrev_b32_e32 v8, 3, v8
	v_lshl_add_u64 v[66:67], v[4:5], 0, v[8:9]
	v_mov_b32_e32 v63, v32
	v_mov_b32_e32 v35, v9
	v_add_u32_e32 v8, 0x96, v34
	v_lshl_add_u64 v[72:73], v[34:35], 3, v[4:5]
	v_lshl_add_u64 v[74:75], v[8:9], 3, v[4:5]
	v_add_u32_e32 v8, 0x12c, v34
	v_lshl_add_u64 v[34:35], v[8:9], 3, v[4:5]
	v_mov_b32_e32 v32, v19
	s_waitcnt vmcnt(4)
	v_pk_mul_f32 v[52:53], v[0:1], v[52:53] op_sel_hi:[1,0]
	v_pk_mul_f32 v[70:71], v[2:3], v[70:71] op_sel_hi:[1,0]
	v_pk_fma_f32 v[76:77], v[24:25], v[0:1], v[52:53] op_sel:[0,0,1] op_sel_hi:[1,1,0] neg_lo:[0,0,1] neg_hi:[0,0,1]
	v_pk_fma_f32 v[0:1], v[24:25], v[0:1], v[52:53] op_sel:[0,0,1] op_sel_hi:[0,1,0]
	v_pk_fma_f32 v[24:25], v[54:55], v[2:3], v[70:71] op_sel:[0,0,1] op_sel_hi:[1,1,0] neg_lo:[0,0,1] neg_hi:[0,0,1]
	v_pk_fma_f32 v[2:3], v[56:57], v[2:3], v[70:71] op_sel:[0,0,1] op_sel_hi:[0,1,0]
	v_mov_b32_e32 v77, v1
	v_mov_b32_e32 v25, v3
	v_pk_add_f32 v[0:1], v[22:23], v[76:77]
	v_pk_add_f32 v[2:3], v[76:77], v[24:25]
	v_pk_add_f32 v[52:53], v[76:77], v[24:25] neg_lo:[0,1] neg_hi:[0,1]
	v_pk_add_f32 v[0:1], v[0:1], v[24:25]
	v_pk_fma_f32 v[2:3], v[2:3], 0.5, v[22:23] op_sel_hi:[1,0,1] neg_lo:[1,0,0] neg_hi:[1,0,0]
	v_pk_mul_f32 v[22:23], v[52:53], s[4:5] op_sel_hi:[1,0]
	global_store_dwordx2 v[66:67], v[0:1], off
	v_pk_add_f32 v[0:1], v[2:3], v[22:23] op_sel:[0,1] op_sel_hi:[1,0]
	v_pk_add_f32 v[2:3], v[2:3], v[22:23] op_sel:[0,1] op_sel_hi:[1,0] neg_lo:[0,1] neg_hi:[0,1]
	s_waitcnt vmcnt(4)
	v_pk_mul_f32 v[22:23], v[36:37], v[18:19] op_sel_hi:[1,0]
	s_waitcnt lgkmcnt(0)
	v_pk_mul_f32 v[24:25], v[38:39], v[64:65] op_sel_hi:[1,0]
	v_mov_b32_e32 v52, v0
	v_mov_b32_e32 v53, v3
	v_mov_b32_e32 v3, v1
	v_pk_fma_f32 v[0:1], v[58:59], v[36:37], v[22:23] op_sel:[0,0,1] op_sel_hi:[1,1,0] neg_lo:[0,0,1] neg_hi:[0,0,1]
	v_pk_fma_f32 v[22:23], v[60:61], v[36:37], v[22:23] op_sel:[0,0,1] op_sel_hi:[0,1,0]
	v_pk_fma_f32 v[36:37], v[20:21], v[38:39], v[24:25] op_sel:[0,0,1] op_sel_hi:[1,1,0] neg_lo:[0,0,1] neg_hi:[0,0,1]
	v_pk_fma_f32 v[24:25], v[20:21], v[38:39], v[24:25] op_sel:[0,0,1] op_sel_hi:[0,1,0]
	v_mov_b32_e32 v1, v23
	v_mov_b32_e32 v37, v25
	global_store_dwordx2 v[66:67], v[52:53], off offset:1200
	global_store_dwordx2 v[66:67], v[2:3], off offset:2400
	v_pk_add_f32 v[2:3], v[0:1], v[36:37]
	v_pk_add_f32 v[22:23], v[0:1], v[36:37] neg_lo:[0,1] neg_hi:[0,1]
	v_pk_fma_f32 v[2:3], v[2:3], 0.5, v[62:63] op_sel_hi:[1,0,1] neg_lo:[1,0,0] neg_hi:[1,0,0]
	v_pk_mul_f32 v[22:23], v[22:23], s[4:5] op_sel_hi:[1,0]
	v_pk_add_f32 v[0:1], v[62:63], v[0:1]
	v_pk_add_f32 v[24:25], v[2:3], v[22:23] op_sel:[0,1] op_sel_hi:[1,0] neg_lo:[0,1] neg_hi:[0,1]
	v_pk_add_f32 v[2:3], v[2:3], v[22:23] op_sel:[0,1] op_sel_hi:[1,0]
	v_pk_add_f32 v[0:1], v[0:1], v[36:37]
	global_store_dwordx2 v[72:73], v[0:1], off
	v_mov_b32_e32 v0, v2
	v_mov_b32_e32 v1, v25
	global_store_dwordx2 v[74:75], v[0:1], off
	v_add_u32_e32 v0, 60, v68
	v_mul_hi_u32 v1, v0, s1
	v_lshrrev_b32_e32 v1, 4, v1
	v_mul_lo_u32 v2, v1, s0
	v_sub_u32_e32 v0, v0, v2
	v_mad_u64_u32 v[0:1], s[6:7], v1, s2, v[0:1]
	v_mov_b32_e32 v25, v3
	v_add_u32_e32 v8, 0x96, v0
	global_store_dwordx2 v[34:35], v[24:25], off
	v_mov_b32_e32 v1, v9
	v_lshl_add_u64 v[22:23], v[8:9], 3, v[4:5]
	v_add_u32_e32 v8, 0x12c, v0
	s_waitcnt vmcnt(8)
	v_pk_mul_f32 v[24:25], v[40:41], v[30:31] op_sel_hi:[1,0]
	v_lshl_add_u64 v[2:3], v[0:1], 3, v[4:5]
	v_lshl_add_u64 v[0:1], v[8:9], 3, v[4:5]
	v_pk_fma_f32 v[34:35], v[16:17], v[40:41], v[24:25] op_sel:[0,0,1] op_sel_hi:[1,1,0] neg_lo:[0,0,1] neg_hi:[0,0,1]
	v_pk_fma_f32 v[24:25], v[16:17], v[40:41], v[24:25] op_sel:[0,0,1] op_sel_hi:[0,1,0]
	v_mov_b32_e32 v8, v65
	v_mov_b32_e32 v35, v25
	v_pk_mul_f32 v[24:25], v[42:43], v[8:9] op_sel_hi:[1,0]
	v_mov_b32_e32 v8, v21
	v_mov_b32_e32 v16, v21
	v_pk_fma_f32 v[20:21], v[8:9], v[42:43], v[24:25] op_sel:[0,0,1] op_sel_hi:[1,1,0] neg_lo:[0,0,1] neg_hi:[0,0,1]
	v_pk_fma_f32 v[24:25], v[16:17], v[42:43], v[24:25] op_sel:[0,0,1] op_sel_hi:[0,1,0]
	v_mov_b32_e32 v21, v25
	v_pk_add_f32 v[24:25], v[34:35], v[20:21]
	v_mov_b32_e32 v16, v17
	v_pk_fma_f32 v[18:19], v[24:25], 0.5, v[32:33] op_sel_hi:[1,0,1] neg_lo:[1,0,0] neg_hi:[1,0,0]
	v_pk_add_f32 v[24:25], v[34:35], v[20:21] neg_lo:[0,1] neg_hi:[0,1]
	s_nop 0
	v_pk_mul_f32 v[24:25], v[24:25], s[4:5] op_sel_hi:[1,0]
	s_nop 0
	v_pk_add_f32 v[36:37], v[18:19], v[24:25] op_sel:[0,1] op_sel_hi:[1,0] neg_lo:[0,1] neg_hi:[0,1]
	v_pk_add_f32 v[18:19], v[18:19], v[24:25] op_sel:[0,1] op_sel_hi:[1,0]
	v_pk_add_f32 v[24:25], v[32:33], v[34:35]
	s_nop 0
	v_pk_add_f32 v[20:21], v[24:25], v[20:21]
	global_store_dwordx2 v[2:3], v[20:21], off
	v_mov_b32_e32 v3, v37
	v_mov_b32_e32 v37, v19
	global_store_dwordx2 v[0:1], v[36:37], off
	v_add_u32_e32 v0, 0x5a, v68
	v_mul_hi_u32 v1, v0, s1
	v_mov_b32_e32 v2, v18
	v_lshrrev_b32_e32 v1, 4, v1
	global_store_dwordx2 v[22:23], v[2:3], off
	v_mul_lo_u32 v2, v1, s0
	v_sub_u32_e32 v0, v0, v2
	v_mad_u64_u32 v[0:1], s[6:7], v1, s2, v[0:1]
	v_add_u32_e32 v8, 0x96, v0
	v_mov_b32_e32 v1, v9
	v_lshl_add_u64 v[18:19], v[8:9], 3, v[4:5]
	v_add_u32_e32 v8, 0x12c, v0
	v_lshl_add_u64 v[2:3], v[0:1], 3, v[4:5]
	v_lshl_add_u64 v[0:1], v[8:9], 3, v[4:5]
	v_mov_b32_e32 v8, v31
	s_waitcnt vmcnt(9)
	v_pk_mul_f32 v[20:21], v[48:49], v[8:9] op_sel_hi:[1,0]
	v_mov_b32_e32 v8, v17
	v_pk_fma_f32 v[22:23], v[8:9], v[48:49], v[20:21] op_sel:[0,0,1] op_sel_hi:[1,1,0] neg_lo:[0,0,1] neg_hi:[0,0,1]
	v_pk_fma_f32 v[16:17], v[16:17], v[48:49], v[20:21] op_sel:[0,0,1] op_sel_hi:[0,1,0]
	v_mov_b32_e32 v23, v17
	v_pk_mul_f32 v[16:17], v[50:51], v[26:27] op_sel_hi:[1,0]
	v_mov_b32_e32 v24, v12
	v_pk_fma_f32 v[20:21], v[14:15], v[50:51], v[16:17] op_sel:[0,0,1] op_sel_hi:[1,1,0] neg_lo:[0,0,1] neg_hi:[0,0,1]
	v_pk_fma_f32 v[16:17], v[14:15], v[50:51], v[16:17] op_sel:[0,0,1] op_sel_hi:[0,1,0]
	v_mov_b32_e32 v21, v17
	v_pk_add_f32 v[16:17], v[22:23], v[20:21]
	v_mov_b32_e32 v25, v6
	v_pk_add_f32 v[30:31], v[22:23], v[20:21] neg_lo:[0,1] neg_hi:[0,1]
	v_pk_fma_f32 v[16:17], v[16:17], 0.5, v[24:25] op_sel_hi:[1,0,1] neg_lo:[1,0,0] neg_hi:[1,0,0]
	v_pk_mul_f32 v[30:31], v[30:31], s[4:5] op_sel_hi:[1,0]
	v_pk_add_f32 v[22:23], v[24:25], v[22:23]
	v_pk_add_f32 v[32:33], v[16:17], v[30:31] op_sel:[0,1] op_sel_hi:[1,0] neg_lo:[0,1] neg_hi:[0,1]
	v_pk_add_f32 v[16:17], v[16:17], v[30:31] op_sel:[0,1] op_sel_hi:[1,0]
	v_pk_add_f32 v[20:21], v[22:23], v[20:21]
	global_store_dwordx2 v[2:3], v[20:21], off
	v_mov_b32_e32 v3, v33
	v_mov_b32_e32 v33, v17
	global_store_dwordx2 v[0:1], v[32:33], off
	v_add_u32_e32 v0, 0x78, v68
	v_mul_hi_u32 v1, v0, s1
	v_mov_b32_e32 v2, v16
	v_lshrrev_b32_e32 v1, 4, v1
	global_store_dwordx2 v[18:19], v[2:3], off
	v_mul_lo_u32 v2, v1, s0
	v_sub_u32_e32 v0, v0, v2
	v_mad_u64_u32 v[0:1], s[0:1], v1, s2, v[0:1]
	v_add_u32_e32 v8, 0x96, v0
	v_mov_b32_e32 v1, v9
	v_lshl_add_u64 v[16:17], v[8:9], 3, v[4:5]
	v_add_u32_e32 v8, 0x12c, v0
	v_lshl_add_u64 v[2:3], v[0:1], 3, v[4:5]
	v_lshl_add_u64 v[0:1], v[8:9], 3, v[4:5]
	v_pk_mul_f32 v[4:5], v[44:45], v[28:29] op_sel_hi:[1,0]
	v_mov_b32_e32 v6, v15
	v_pk_fma_f32 v[8:9], v[10:11], v[44:45], v[4:5] op_sel:[0,0,1] op_sel_hi:[1,1,0] neg_lo:[0,0,1] neg_hi:[0,0,1]
	v_pk_fma_f32 v[4:5], v[10:11], v[44:45], v[4:5] op_sel:[0,0,1] op_sel_hi:[0,1,0]
	v_mov_b32_e32 v4, v27
	v_mov_b32_e32 v9, v5
	v_pk_mul_f32 v[4:5], v[46:47], v[4:5] op_sel_hi:[1,0]
	v_mov_b32_e32 v10, v15
	v_pk_fma_f32 v[14:15], v[6:7], v[46:47], v[4:5] op_sel:[0,0,1] op_sel_hi:[1,1,0] neg_lo:[0,0,1] neg_hi:[0,0,1]
	v_pk_fma_f32 v[4:5], v[10:11], v[46:47], v[4:5] op_sel:[0,0,1] op_sel_hi:[0,1,0]
	v_mov_b32_e32 v15, v5
	v_pk_add_f32 v[4:5], v[8:9], v[14:15]
	v_mov_b32_e32 v6, v13
	v_pk_add_f32 v[10:11], v[8:9], v[14:15] neg_lo:[0,1] neg_hi:[0,1]
	v_pk_fma_f32 v[4:5], v[4:5], 0.5, v[6:7] op_sel_hi:[1,0,1] neg_lo:[1,0,0] neg_hi:[1,0,0]
	v_pk_mul_f32 v[10:11], v[10:11], s[4:5] op_sel_hi:[1,0]
	v_pk_add_f32 v[6:7], v[6:7], v[8:9]
	v_pk_add_f32 v[12:13], v[4:5], v[10:11] op_sel:[0,1] op_sel_hi:[1,0] neg_lo:[0,1] neg_hi:[0,1]
	v_pk_add_f32 v[4:5], v[4:5], v[10:11] op_sel:[0,1] op_sel_hi:[1,0]
	v_pk_add_f32 v[6:7], v[6:7], v[14:15]
	global_store_dwordx2 v[2:3], v[6:7], off
	v_mov_b32_e32 v2, v4
	v_mov_b32_e32 v3, v13
	;; [unrolled: 1-line block ×3, first 2 shown]
	global_store_dwordx2 v[16:17], v[2:3], off
	global_store_dwordx2 v[0:1], v[12:13], off
.LBB0_21:
	s_endpgm
	.section	.rodata,"a",@progbits
	.p2align	6, 0x0
	.amdhsa_kernel fft_rtc_fwd_len450_factors_10_5_3_3_wgs_120_tpt_30_halfLds_sp_op_CI_CI_unitstride_sbrr_dirReg
		.amdhsa_group_segment_fixed_size 0
		.amdhsa_private_segment_fixed_size 0
		.amdhsa_kernarg_size 104
		.amdhsa_user_sgpr_count 2
		.amdhsa_user_sgpr_dispatch_ptr 0
		.amdhsa_user_sgpr_queue_ptr 0
		.amdhsa_user_sgpr_kernarg_segment_ptr 1
		.amdhsa_user_sgpr_dispatch_id 0
		.amdhsa_user_sgpr_kernarg_preload_length 0
		.amdhsa_user_sgpr_kernarg_preload_offset 0
		.amdhsa_user_sgpr_private_segment_size 0
		.amdhsa_uses_dynamic_stack 0
		.amdhsa_enable_private_segment 0
		.amdhsa_system_sgpr_workgroup_id_x 1
		.amdhsa_system_sgpr_workgroup_id_y 0
		.amdhsa_system_sgpr_workgroup_id_z 0
		.amdhsa_system_sgpr_workgroup_info 0
		.amdhsa_system_vgpr_workitem_id 0
		.amdhsa_next_free_vgpr 92
		.amdhsa_next_free_sgpr 28
		.amdhsa_accum_offset 92
		.amdhsa_reserve_vcc 1
		.amdhsa_float_round_mode_32 0
		.amdhsa_float_round_mode_16_64 0
		.amdhsa_float_denorm_mode_32 3
		.amdhsa_float_denorm_mode_16_64 3
		.amdhsa_dx10_clamp 1
		.amdhsa_ieee_mode 1
		.amdhsa_fp16_overflow 0
		.amdhsa_tg_split 0
		.amdhsa_exception_fp_ieee_invalid_op 0
		.amdhsa_exception_fp_denorm_src 0
		.amdhsa_exception_fp_ieee_div_zero 0
		.amdhsa_exception_fp_ieee_overflow 0
		.amdhsa_exception_fp_ieee_underflow 0
		.amdhsa_exception_fp_ieee_inexact 0
		.amdhsa_exception_int_div_zero 0
	.end_amdhsa_kernel
	.text
.Lfunc_end0:
	.size	fft_rtc_fwd_len450_factors_10_5_3_3_wgs_120_tpt_30_halfLds_sp_op_CI_CI_unitstride_sbrr_dirReg, .Lfunc_end0-fft_rtc_fwd_len450_factors_10_5_3_3_wgs_120_tpt_30_halfLds_sp_op_CI_CI_unitstride_sbrr_dirReg
                                        ; -- End function
	.section	.AMDGPU.csdata,"",@progbits
; Kernel info:
; codeLenInByte = 8864
; NumSgprs: 34
; NumVgprs: 92
; NumAgprs: 0
; TotalNumVgprs: 92
; ScratchSize: 0
; MemoryBound: 0
; FloatMode: 240
; IeeeMode: 1
; LDSByteSize: 0 bytes/workgroup (compile time only)
; SGPRBlocks: 4
; VGPRBlocks: 11
; NumSGPRsForWavesPerEU: 34
; NumVGPRsForWavesPerEU: 92
; AccumOffset: 92
; Occupancy: 5
; WaveLimiterHint : 1
; COMPUTE_PGM_RSRC2:SCRATCH_EN: 0
; COMPUTE_PGM_RSRC2:USER_SGPR: 2
; COMPUTE_PGM_RSRC2:TRAP_HANDLER: 0
; COMPUTE_PGM_RSRC2:TGID_X_EN: 1
; COMPUTE_PGM_RSRC2:TGID_Y_EN: 0
; COMPUTE_PGM_RSRC2:TGID_Z_EN: 0
; COMPUTE_PGM_RSRC2:TIDIG_COMP_CNT: 0
; COMPUTE_PGM_RSRC3_GFX90A:ACCUM_OFFSET: 22
; COMPUTE_PGM_RSRC3_GFX90A:TG_SPLIT: 0
	.text
	.p2alignl 6, 3212836864
	.fill 256, 4, 3212836864
	.type	__hip_cuid_122fe58bfa50ab66,@object ; @__hip_cuid_122fe58bfa50ab66
	.section	.bss,"aw",@nobits
	.globl	__hip_cuid_122fe58bfa50ab66
__hip_cuid_122fe58bfa50ab66:
	.byte	0                               ; 0x0
	.size	__hip_cuid_122fe58bfa50ab66, 1

	.ident	"AMD clang version 19.0.0git (https://github.com/RadeonOpenCompute/llvm-project roc-6.4.0 25133 c7fe45cf4b819c5991fe208aaa96edf142730f1d)"
	.section	".note.GNU-stack","",@progbits
	.addrsig
	.addrsig_sym __hip_cuid_122fe58bfa50ab66
	.amdgpu_metadata
---
amdhsa.kernels:
  - .agpr_count:     0
    .args:
      - .actual_access:  read_only
        .address_space:  global
        .offset:         0
        .size:           8
        .value_kind:     global_buffer
      - .offset:         8
        .size:           8
        .value_kind:     by_value
      - .actual_access:  read_only
        .address_space:  global
        .offset:         16
        .size:           8
        .value_kind:     global_buffer
      - .actual_access:  read_only
        .address_space:  global
        .offset:         24
        .size:           8
        .value_kind:     global_buffer
      - .actual_access:  read_only
        .address_space:  global
        .offset:         32
        .size:           8
        .value_kind:     global_buffer
      - .offset:         40
        .size:           8
        .value_kind:     by_value
      - .actual_access:  read_only
        .address_space:  global
        .offset:         48
        .size:           8
        .value_kind:     global_buffer
      - .actual_access:  read_only
        .address_space:  global
        .offset:         56
        .size:           8
        .value_kind:     global_buffer
      - .offset:         64
        .size:           4
        .value_kind:     by_value
      - .actual_access:  read_only
        .address_space:  global
        .offset:         72
        .size:           8
        .value_kind:     global_buffer
      - .actual_access:  read_only
        .address_space:  global
        .offset:         80
        .size:           8
        .value_kind:     global_buffer
      - .actual_access:  read_only
        .address_space:  global
        .offset:         88
        .size:           8
        .value_kind:     global_buffer
      - .actual_access:  write_only
        .address_space:  global
        .offset:         96
        .size:           8
        .value_kind:     global_buffer
    .group_segment_fixed_size: 0
    .kernarg_segment_align: 8
    .kernarg_segment_size: 104
    .language:       OpenCL C
    .language_version:
      - 2
      - 0
    .max_flat_workgroup_size: 120
    .name:           fft_rtc_fwd_len450_factors_10_5_3_3_wgs_120_tpt_30_halfLds_sp_op_CI_CI_unitstride_sbrr_dirReg
    .private_segment_fixed_size: 0
    .sgpr_count:     34
    .sgpr_spill_count: 0
    .symbol:         fft_rtc_fwd_len450_factors_10_5_3_3_wgs_120_tpt_30_halfLds_sp_op_CI_CI_unitstride_sbrr_dirReg.kd
    .uniform_work_group_size: 1
    .uses_dynamic_stack: false
    .vgpr_count:     92
    .vgpr_spill_count: 0
    .wavefront_size: 64
amdhsa.target:   amdgcn-amd-amdhsa--gfx950
amdhsa.version:
  - 1
  - 2
...

	.end_amdgpu_metadata
